;; amdgpu-corpus repo=ROCm/rocFFT kind=compiled arch=gfx950 opt=O3
	.text
	.amdgcn_target "amdgcn-amd-amdhsa--gfx950"
	.amdhsa_code_object_version 6
	.protected	fft_rtc_fwd_len2025_factors_3_3_5_5_3_3_wgs_135_tpt_135_halfLds_sp_ip_CI_sbrr_dirReg ; -- Begin function fft_rtc_fwd_len2025_factors_3_3_5_5_3_3_wgs_135_tpt_135_halfLds_sp_ip_CI_sbrr_dirReg
	.globl	fft_rtc_fwd_len2025_factors_3_3_5_5_3_3_wgs_135_tpt_135_halfLds_sp_ip_CI_sbrr_dirReg
	.p2align	8
	.type	fft_rtc_fwd_len2025_factors_3_3_5_5_3_3_wgs_135_tpt_135_halfLds_sp_ip_CI_sbrr_dirReg,@function
fft_rtc_fwd_len2025_factors_3_3_5_5_3_3_wgs_135_tpt_135_halfLds_sp_ip_CI_sbrr_dirReg: ; @fft_rtc_fwd_len2025_factors_3_3_5_5_3_3_wgs_135_tpt_135_halfLds_sp_ip_CI_sbrr_dirReg
; %bb.0:
	s_load_dwordx2 s[12:13], s[0:1], 0x18
	s_load_dwordx4 s[4:7], s[0:1], 0x0
	s_load_dwordx2 s[10:11], s[0:1], 0x50
	v_mul_u32_u24_e32 v1, 0x1e6, v0
	v_add_u32_sdwa v6, s2, v1 dst_sel:DWORD dst_unused:UNUSED_PAD src0_sel:DWORD src1_sel:WORD_1
	s_waitcnt lgkmcnt(0)
	s_load_dwordx2 s[8:9], s[12:13], 0x0
	v_mov_b32_e32 v4, 0
	v_cmp_lt_u64_e64 s[2:3], s[6:7], 2
	v_mov_b32_e32 v7, v4
	s_and_b64 vcc, exec, s[2:3]
	v_mov_b64_e32 v[2:3], 0
	s_cbranch_vccnz .LBB0_8
; %bb.1:
	s_load_dwordx2 s[2:3], s[0:1], 0x10
	s_add_u32 s14, s12, 8
	s_addc_u32 s15, s13, 0
	s_mov_b64 s[16:17], 1
	v_mov_b64_e32 v[2:3], 0
	s_waitcnt lgkmcnt(0)
	s_add_u32 s18, s2, 8
	s_addc_u32 s19, s3, 0
.LBB0_2:                                ; =>This Inner Loop Header: Depth=1
	s_load_dwordx2 s[20:21], s[18:19], 0x0
                                        ; implicit-def: $vgpr8_vgpr9
	s_waitcnt lgkmcnt(0)
	v_or_b32_e32 v5, s21, v7
	v_cmp_ne_u64_e32 vcc, 0, v[4:5]
	s_and_saveexec_b64 s[2:3], vcc
	s_xor_b64 s[22:23], exec, s[2:3]
	s_cbranch_execz .LBB0_4
; %bb.3:                                ;   in Loop: Header=BB0_2 Depth=1
	v_cvt_f32_u32_e32 v1, s20
	v_cvt_f32_u32_e32 v5, s21
	s_sub_u32 s2, 0, s20
	s_subb_u32 s3, 0, s21
	v_fmac_f32_e32 v1, 0x4f800000, v5
	v_rcp_f32_e32 v1, v1
	s_nop 0
	v_mul_f32_e32 v1, 0x5f7ffffc, v1
	v_mul_f32_e32 v5, 0x2f800000, v1
	v_trunc_f32_e32 v5, v5
	v_fmac_f32_e32 v1, 0xcf800000, v5
	v_cvt_u32_f32_e32 v5, v5
	v_cvt_u32_f32_e32 v1, v1
	v_mul_lo_u32 v8, s2, v5
	v_mul_hi_u32 v10, s2, v1
	v_mul_lo_u32 v9, s3, v1
	v_add_u32_e32 v10, v10, v8
	v_mul_lo_u32 v12, s2, v1
	v_add_u32_e32 v13, v10, v9
	v_mul_hi_u32 v8, v1, v12
	v_mul_hi_u32 v11, v1, v13
	v_mul_lo_u32 v10, v1, v13
	v_mov_b32_e32 v9, v4
	v_lshl_add_u64 v[8:9], v[8:9], 0, v[10:11]
	v_mul_hi_u32 v11, v5, v12
	v_mul_lo_u32 v12, v5, v12
	v_add_co_u32_e32 v8, vcc, v8, v12
	v_mul_hi_u32 v10, v5, v13
	s_nop 0
	v_addc_co_u32_e32 v8, vcc, v9, v11, vcc
	v_mov_b32_e32 v9, v4
	s_nop 0
	v_addc_co_u32_e32 v11, vcc, 0, v10, vcc
	v_mul_lo_u32 v10, v5, v13
	v_lshl_add_u64 v[8:9], v[8:9], 0, v[10:11]
	v_add_co_u32_e32 v1, vcc, v1, v8
	v_mul_lo_u32 v10, s2, v1
	s_nop 0
	v_addc_co_u32_e32 v5, vcc, v5, v9, vcc
	v_mul_lo_u32 v8, s2, v5
	v_mul_hi_u32 v9, s2, v1
	v_add_u32_e32 v8, v9, v8
	v_mul_lo_u32 v9, s3, v1
	v_add_u32_e32 v12, v8, v9
	v_mul_hi_u32 v14, v5, v10
	v_mul_lo_u32 v15, v5, v10
	v_mul_hi_u32 v9, v1, v12
	v_mul_lo_u32 v8, v1, v12
	v_mul_hi_u32 v10, v1, v10
	v_mov_b32_e32 v11, v4
	v_lshl_add_u64 v[8:9], v[10:11], 0, v[8:9]
	v_add_co_u32_e32 v8, vcc, v8, v15
	v_mul_hi_u32 v13, v5, v12
	s_nop 0
	v_addc_co_u32_e32 v8, vcc, v9, v14, vcc
	v_mul_lo_u32 v10, v5, v12
	s_nop 0
	v_addc_co_u32_e32 v11, vcc, 0, v13, vcc
	v_mov_b32_e32 v9, v4
	v_lshl_add_u64 v[8:9], v[8:9], 0, v[10:11]
	v_add_co_u32_e32 v1, vcc, v1, v8
	v_mul_hi_u32 v10, v6, v1
	s_nop 0
	v_addc_co_u32_e32 v5, vcc, v5, v9, vcc
	v_mad_u64_u32 v[8:9], s[2:3], v6, v5, 0
	v_mov_b32_e32 v11, v4
	v_lshl_add_u64 v[8:9], v[10:11], 0, v[8:9]
	v_mad_u64_u32 v[12:13], s[2:3], v7, v1, 0
	v_add_co_u32_e32 v1, vcc, v8, v12
	v_mad_u64_u32 v[10:11], s[2:3], v7, v5, 0
	s_nop 0
	v_addc_co_u32_e32 v8, vcc, v9, v13, vcc
	v_mov_b32_e32 v9, v4
	s_nop 0
	v_addc_co_u32_e32 v11, vcc, 0, v11, vcc
	v_lshl_add_u64 v[8:9], v[8:9], 0, v[10:11]
	v_mul_lo_u32 v1, s21, v8
	v_mul_lo_u32 v5, s20, v9
	v_mad_u64_u32 v[10:11], s[2:3], s20, v8, 0
	v_add3_u32 v1, v11, v5, v1
	v_sub_u32_e32 v5, v7, v1
	v_mov_b32_e32 v11, s21
	v_sub_co_u32_e32 v14, vcc, v6, v10
	v_lshl_add_u64 v[12:13], v[8:9], 0, 1
	s_nop 0
	v_subb_co_u32_e64 v5, s[2:3], v5, v11, vcc
	v_subrev_co_u32_e64 v10, s[2:3], s20, v14
	v_subb_co_u32_e32 v1, vcc, v7, v1, vcc
	s_nop 0
	v_subbrev_co_u32_e64 v5, s[2:3], 0, v5, s[2:3]
	v_cmp_le_u32_e64 s[2:3], s21, v5
	v_cmp_le_u32_e32 vcc, s21, v1
	s_nop 0
	v_cndmask_b32_e64 v11, 0, -1, s[2:3]
	v_cmp_le_u32_e64 s[2:3], s20, v10
	s_nop 1
	v_cndmask_b32_e64 v10, 0, -1, s[2:3]
	v_cmp_eq_u32_e64 s[2:3], s21, v5
	s_nop 1
	v_cndmask_b32_e64 v5, v11, v10, s[2:3]
	v_lshl_add_u64 v[10:11], v[8:9], 0, 2
	v_cmp_ne_u32_e64 s[2:3], 0, v5
	s_nop 1
	v_cndmask_b32_e64 v5, v13, v11, s[2:3]
	v_cndmask_b32_e64 v11, 0, -1, vcc
	v_cmp_le_u32_e32 vcc, s20, v14
	s_nop 1
	v_cndmask_b32_e64 v13, 0, -1, vcc
	v_cmp_eq_u32_e32 vcc, s21, v1
	s_nop 1
	v_cndmask_b32_e32 v1, v11, v13, vcc
	v_cmp_ne_u32_e32 vcc, 0, v1
	v_cndmask_b32_e64 v1, v12, v10, s[2:3]
	s_nop 0
	v_cndmask_b32_e32 v9, v9, v5, vcc
	v_cndmask_b32_e32 v8, v8, v1, vcc
.LBB0_4:                                ;   in Loop: Header=BB0_2 Depth=1
	s_andn2_saveexec_b64 s[2:3], s[22:23]
	s_cbranch_execz .LBB0_6
; %bb.5:                                ;   in Loop: Header=BB0_2 Depth=1
	v_cvt_f32_u32_e32 v1, s20
	s_sub_i32 s22, 0, s20
	v_rcp_iflag_f32_e32 v1, v1
	s_nop 0
	v_mul_f32_e32 v1, 0x4f7ffffe, v1
	v_cvt_u32_f32_e32 v1, v1
	v_mul_lo_u32 v5, s22, v1
	v_mul_hi_u32 v5, v1, v5
	v_add_u32_e32 v1, v1, v5
	v_mul_hi_u32 v1, v6, v1
	v_mul_lo_u32 v5, v1, s20
	v_sub_u32_e32 v5, v6, v5
	v_add_u32_e32 v8, 1, v1
	v_subrev_u32_e32 v9, s20, v5
	v_cmp_le_u32_e32 vcc, s20, v5
	s_nop 1
	v_cndmask_b32_e32 v5, v5, v9, vcc
	v_cndmask_b32_e32 v1, v1, v8, vcc
	v_add_u32_e32 v8, 1, v1
	v_cmp_le_u32_e32 vcc, s20, v5
	v_mov_b32_e32 v9, v4
	s_nop 0
	v_cndmask_b32_e32 v8, v1, v8, vcc
.LBB0_6:                                ;   in Loop: Header=BB0_2 Depth=1
	s_or_b64 exec, exec, s[2:3]
	v_mad_u64_u32 v[10:11], s[2:3], v8, s20, 0
	s_load_dwordx2 s[2:3], s[14:15], 0x0
	v_mul_lo_u32 v1, v9, s20
	v_mul_lo_u32 v5, v8, s21
	v_add3_u32 v1, v11, v5, v1
	v_sub_co_u32_e32 v5, vcc, v6, v10
	s_add_u32 s16, s16, 1
	s_nop 0
	v_subb_co_u32_e32 v1, vcc, v7, v1, vcc
	s_addc_u32 s17, s17, 0
	s_waitcnt lgkmcnt(0)
	v_mul_lo_u32 v1, s2, v1
	v_mul_lo_u32 v6, s3, v5
	v_mad_u64_u32 v[2:3], s[2:3], s2, v5, v[2:3]
	s_add_u32 s14, s14, 8
	v_add3_u32 v3, v6, v3, v1
	s_addc_u32 s15, s15, 0
	v_mov_b64_e32 v[6:7], s[6:7]
	s_add_u32 s18, s18, 8
	v_cmp_ge_u64_e32 vcc, s[16:17], v[6:7]
	s_addc_u32 s19, s19, 0
	s_cbranch_vccnz .LBB0_9
; %bb.7:                                ;   in Loop: Header=BB0_2 Depth=1
	v_mov_b64_e32 v[6:7], v[8:9]
	s_branch .LBB0_2
.LBB0_8:
	v_mov_b64_e32 v[8:9], v[6:7]
.LBB0_9:
	s_lshl_b64 s[2:3], s[6:7], 3
	s_add_u32 s2, s12, s2
	s_addc_u32 s3, s13, s3
	s_load_dwordx2 s[6:7], s[2:3], 0x0
	s_load_dwordx2 s[12:13], s[0:1], 0x20
	s_mov_b32 s2, 0x1e573ad
                                        ; implicit-def: $vgpr18_vgpr19
                                        ; implicit-def: $vgpr44
                                        ; implicit-def: $vgpr33
	s_waitcnt lgkmcnt(0)
	v_mul_lo_u32 v1, s6, v9
	v_mul_lo_u32 v4, s7, v8
	v_mad_u64_u32 v[2:3], s[0:1], s6, v8, v[2:3]
	v_add3_u32 v3, v4, v3, v1
	v_mul_hi_u32 v1, v0, s2
	v_mul_u32_u24_e32 v1, 0x87, v1
	v_cmp_gt_u64_e32 vcc, s[12:13], v[8:9]
	v_cmp_le_u64_e64 s[0:1], s[12:13], v[8:9]
	v_sub_u32_e32 v43, v0, v1
	s_and_saveexec_b64 s[2:3], s[0:1]
	s_xor_b64 s[0:1], exec, s[2:3]
; %bb.10:
	v_add_u32_e32 v44, 0x87, v43
	v_add_u32_e32 v19, 0x195, v43
	v_add_u32_e32 v18, 0x10e, v43
	v_add_u32_e32 v33, 0x21c, v43
; %bb.11:
	s_or_saveexec_b64 s[0:1], s[0:1]
	v_lshl_add_u64 v[16:17], v[2:3], 3, s[10:11]
                                        ; implicit-def: $vgpr6
                                        ; implicit-def: $vgpr10
                                        ; implicit-def: $vgpr40
                                        ; implicit-def: $vgpr24
                                        ; implicit-def: $vgpr2
                                        ; implicit-def: $vgpr4
                                        ; implicit-def: $vgpr38
                                        ; implicit-def: $vgpr26
                                        ; implicit-def: $vgpr14
                                        ; implicit-def: $vgpr0
                                        ; implicit-def: $vgpr34
                                        ; implicit-def: $vgpr28
                                        ; implicit-def: $vgpr8
                                        ; implicit-def: $vgpr12
                                        ; implicit-def: $vgpr30
                                        ; implicit-def: $vgpr32
                                        ; implicit-def: $vgpr20
                                        ; implicit-def: $vgpr22
                                        ; implicit-def: $vgpr36
                                        ; implicit-def: $vgpr42
	s_xor_b64 exec, exec, s[0:1]
	s_cbranch_execz .LBB0_13
; %bb.12:
	v_mad_u64_u32 v[0:1], s[2:3], s8, v43, 0
	v_mov_b32_e32 v2, v1
	v_mad_u64_u32 v[2:3], s[2:3], s9, v43, v[2:3]
	v_add_u32_e32 v5, 0x2a3, v43
	v_mov_b32_e32 v1, v2
	v_mad_u64_u32 v[2:3], s[2:3], s8, v5, 0
	v_mov_b32_e32 v4, v3
	v_mad_u64_u32 v[4:5], s[2:3], s9, v5, v[4:5]
	v_add_u32_e32 v7, 0x546, v43
	v_mov_b32_e32 v3, v4
	;; [unrolled: 5-line block ×3, first 2 shown]
	v_mad_u64_u32 v[6:7], s[2:3], s8, v44, 0
	v_mov_b32_e32 v8, v7
	v_mad_u64_u32 v[8:9], s[2:3], s9, v44, v[8:9]
	v_lshl_add_u64 v[0:1], v[0:1], 3, v[16:17]
	v_lshl_add_u64 v[2:3], v[2:3], 3, v[16:17]
	v_mov_b32_e32 v7, v8
	v_lshl_add_u64 v[4:5], v[4:5], 3, v[16:17]
	v_lshl_add_u64 v[6:7], v[6:7], 3, v[16:17]
	global_load_dwordx2 v[36:37], v[0:1], off
	global_load_dwordx2 v[22:23], v[2:3], off
	;; [unrolled: 1-line block ×4, first 2 shown]
	v_add_u32_e32 v3, 0x32a, v43
	v_mad_u64_u32 v[0:1], s[2:3], s8, v3, 0
	v_mov_b32_e32 v2, v1
	v_mad_u64_u32 v[2:3], s[2:3], s9, v3, v[2:3]
	v_mov_b32_e32 v1, v2
	v_add_u32_e32 v5, 0x5cd, v43
	v_lshl_add_u64 v[2:3], v[0:1], 3, v[16:17]
	v_mad_u64_u32 v[0:1], s[2:3], s8, v5, 0
	v_mov_b32_e32 v4, v1
	v_mad_u64_u32 v[4:5], s[2:3], s9, v5, v[4:5]
	v_mov_b32_e32 v1, v4
	v_add_u32_e32 v18, 0x10e, v43
	v_lshl_add_u64 v[4:5], v[0:1], 3, v[16:17]
	;; [unrolled: 6-line block ×3, first 2 shown]
	v_mad_u64_u32 v[0:1], s[2:3], s8, v9, 0
	v_mov_b32_e32 v8, v1
	v_mad_u64_u32 v[8:9], s[2:3], s9, v9, v[8:9]
	v_mov_b32_e32 v1, v8
	v_lshl_add_u64 v[10:11], v[0:1], 3, v[16:17]
	global_load_dwordx2 v[12:13], v[2:3], off
	global_load_dwordx2 v[8:9], v[4:5], off
	;; [unrolled: 1-line block ×4, first 2 shown]
	v_add_u32_e32 v5, 0x654, v43
	v_mad_u64_u32 v[2:3], s[2:3], s8, v5, 0
	v_mov_b32_e32 v4, v3
	v_mad_u64_u32 v[4:5], s[2:3], s9, v5, v[4:5]
	v_add_u32_e32 v19, 0x195, v43
	v_mov_b32_e32 v3, v4
	v_lshl_add_u64 v[6:7], v[2:3], 3, v[16:17]
	v_mad_u64_u32 v[2:3], s[2:3], s8, v19, 0
	v_mov_b32_e32 v4, v3
	v_mad_u64_u32 v[4:5], s[2:3], s9, v19, v[4:5]
	v_mov_b32_e32 v3, v4
	v_add_u32_e32 v5, 0x438, v43
	v_lshl_add_u64 v[10:11], v[2:3], 3, v[16:17]
	v_mad_u64_u32 v[2:3], s[2:3], s8, v5, 0
	v_mov_b32_e32 v4, v3
	v_mad_u64_u32 v[4:5], s[2:3], s9, v5, v[4:5]
	v_mov_b32_e32 v3, v4
	v_add_u32_e32 v5, 0x6db, v43
	;; [unrolled: 6-line block ×3, first 2 shown]
	v_lshl_add_u64 v[26:27], v[2:3], 3, v[16:17]
	global_load_dwordx2 v[14:15], v[6:7], off
	global_load_dwordx2 v[38:39], v[10:11], off
	;; [unrolled: 1-line block ×4, first 2 shown]
	v_mad_u64_u32 v[6:7], s[2:3], s8, v33, 0
	v_mov_b32_e32 v10, v7
	v_mad_u64_u32 v[10:11], s[2:3], s9, v33, v[10:11]
	v_add_u32_e32 v25, 0x4bf, v43
	v_mov_b32_e32 v7, v10
	v_mad_u64_u32 v[10:11], s[2:3], s8, v25, 0
	v_mov_b32_e32 v24, v11
	v_mad_u64_u32 v[24:25], s[2:3], s9, v25, v[24:25]
	v_mov_b32_e32 v11, v24
	v_add_u32_e32 v27, 0x762, v43
	v_lshl_add_u64 v[24:25], v[10:11], 3, v[16:17]
	v_mad_u64_u32 v[10:11], s[2:3], s8, v27, 0
	v_lshl_add_u64 v[6:7], v[6:7], 3, v[16:17]
	v_mov_b32_e32 v26, v11
	global_load_dwordx2 v[40:41], v[6:7], off
	v_mad_u64_u32 v[6:7], s[2:3], s9, v27, v[26:27]
	v_mov_b32_e32 v11, v6
	v_lshl_add_u64 v[26:27], v[10:11], 3, v[16:17]
	global_load_dwordx2 v[10:11], v[24:25], off
	global_load_dwordx2 v[6:7], v[26:27], off
	s_waitcnt vmcnt(11)
	v_mov_b32_e32 v32, v31
	v_mov_b32_e32 v42, v37
	s_waitcnt vmcnt(8)
	v_mov_b32_e32 v28, v35
	s_waitcnt vmcnt(5)
	;; [unrolled: 2-line block ×3, first 2 shown]
	v_mov_b32_e32 v24, v41
.LBB0_13:
	s_or_b64 exec, exec, s[0:1]
	v_pk_add_f32 v[46:47], v[20:21], v[22:23]
	v_mov_b32_e32 v48, v22
	v_mul_f32_e32 v49, 0.5, v46
	v_pk_add_f32 v[54:55], v[22:23], v[20:21] neg_lo:[0,1] neg_hi:[0,1]
	v_pk_add_f32 v[48:49], v[36:37], v[48:49] op_sel_hi:[0,1] neg_lo:[0,1] neg_hi:[0,1]
	v_pk_add_f32 v[36:37], v[36:37], v[22:23]
	v_mul_f32_e32 v51, 0x3f5db3d7, v55
	v_pk_add_f32 v[56:57], v[8:9], v[12:13]
	v_mov_b32_e32 v37, v49
	v_mov_b32_e32 v50, v20
	v_mul_f32_e32 v53, 0.5, v56
	v_pk_add_f32 v[36:37], v[50:51], v[36:37]
	v_mad_u32_u24 v25, v43, 12, 0
	v_mov_b32_e32 v52, v12
	v_pk_add_f32 v[58:59], v[12:13], v[8:9] neg_lo:[0,1] neg_hi:[0,1]
	ds_write2_b32 v25, v36, v37 offset1:1
	v_pk_add_f32 v[36:37], v[30:31], v[52:53] op_sel_hi:[0,1] neg_lo:[0,1] neg_hi:[0,1]
	v_pk_add_f32 v[30:31], v[30:31], v[12:13]
	v_mul_f32_e32 v51, 0x3f5db3d7, v59
	v_pk_add_f32 v[60:61], v[14:15], v[0:1]
	v_fmac_f32_e32 v49, 0xbf5db3d7, v55
	v_mov_b32_e32 v31, v37
	v_mov_b32_e32 v50, v8
	ds_write_b32 v25, v49 offset:8
	v_mul_f32_e32 v49, 0.5, v60
	v_pk_add_f32 v[30:31], v[50:51], v[30:31]
	v_mad_i32_i24 v36, v44, 12, 0
	v_mov_b32_e32 v48, v0
	ds_write2_b32 v36, v30, v31 offset1:1
	v_pk_add_f32 v[30:31], v[0:1], v[14:15] neg_lo:[0,1] neg_hi:[0,1]
	v_pk_add_f32 v[48:49], v[34:35], v[48:49] op_sel_hi:[0,1] neg_lo:[0,1] neg_hi:[0,1]
	v_pk_add_f32 v[34:35], v[34:35], v[0:1]
	v_mul_f32_e32 v51, 0x3f5db3d7, v31
	v_mov_b32_e32 v35, v49
	v_mov_b32_e32 v50, v14
	v_fmac_f32_e32 v37, 0xbf5db3d7, v59
	v_pk_add_f32 v[50:51], v[50:51], v[34:35]
	v_pk_add_f32 v[62:63], v[2:3], v[4:5]
	v_mad_i32_i24 v35, v18, 12, 0
	ds_write_b32 v36, v37 offset:8
	ds_write2_b32 v35, v50, v51 offset1:1
	v_mul_f32_e32 v51, 0.5, v62
	v_fmac_f32_e32 v49, 0xbf5db3d7, v31
	v_mov_b32_e32 v50, v4
	ds_write_b32 v35, v49 offset:8
	v_pk_add_f32 v[64:65], v[4:5], v[2:3] neg_lo:[0,1] neg_hi:[0,1]
	v_pk_add_f32 v[48:49], v[38:39], v[50:51] op_sel_hi:[0,1] neg_lo:[0,1] neg_hi:[0,1]
	v_pk_add_f32 v[38:39], v[38:39], v[4:5]
	v_mul_f32_e32 v51, 0x3f5db3d7, v65
	v_mov_b32_e32 v39, v49
	v_mov_b32_e32 v50, v2
	v_pk_add_f32 v[38:39], v[50:51], v[38:39]
	v_mad_i32_i24 v37, v19, 12, 0
	s_waitcnt vmcnt(0)
	v_pk_add_f32 v[66:67], v[6:7], v[10:11]
	ds_write2_b32 v37, v38, v39 offset1:1
	v_mul_f32_e32 v39, 0.5, v66
	v_mov_b32_e32 v38, v10
	v_fmac_f32_e32 v49, 0xbf5db3d7, v65
	v_pk_add_f32 v[38:39], v[40:41], v[38:39] op_sel_hi:[0,1] neg_lo:[0,1] neg_hi:[0,1]
	v_pk_add_f32 v[40:41], v[40:41], v[10:11]
	v_pk_add_f32 v[68:69], v[10:11], v[6:7] neg_lo:[0,1] neg_hi:[0,1]
	ds_write_b32 v37, v49 offset:8
	v_mov_b32_e32 v41, v39
	v_mul_f32_e32 v49, 0x3f5db3d7, v69
	v_mov_b32_e32 v48, v6
	v_pk_add_f32 v[40:41], v[48:49], v[40:41]
	v_mad_i32_i24 v38, v33, 12, 0
	v_mov_b32_e32 v0, v23
	ds_write2_b32 v38, v40, v41 offset1:1
	v_mul_f32_e32 v41, 0.5, v47
	v_mov_b32_e32 v40, v23
	v_pk_add_f32 v[22:23], v[42:43], v[0:1] op_sel_hi:[0,1]
	v_mov_b32_e32 v0, v21
	v_fmac_f32_e32 v39, 0xbf5db3d7, v69
	v_pk_add_f32 v[70:71], v[42:43], v[40:41] op_sel_hi:[0,1] neg_lo:[0,1] neg_hi:[0,1]
	v_mul_f32_e32 v73, 0x3f5db3d7, v54
	v_mov_b32_e32 v72, v21
	v_pk_add_f32 v[20:21], v[22:23], v[0:1] op_sel_hi:[1,0]
	v_lshlrev_b32_e32 v0, 3, v43
	ds_write_b32 v38, v39 offset:8
	v_sub_u32_e32 v39, v25, v0
	v_lshlrev_b32_e32 v46, 3, v44
	v_lshlrev_b32_e32 v47, 3, v18
	;; [unrolled: 1-line block ×4, first 2 shown]
	v_pk_add_f32 v[22:23], v[70:71], v[72:73] neg_lo:[0,1] neg_hi:[0,1]
	s_waitcnt lgkmcnt(0)
	s_barrier
	v_add_u32_e32 v40, 0xa00, v39
	v_add_u32_e32 v41, 0x1200, v39
	v_sub_u32_e32 v34, v36, v46
	v_add_u32_e32 v42, 0x1600, v39
	v_sub_u32_e32 v53, v35, v47
	;; [unrolled: 2-line block ×4, first 2 shown]
	ds_read_b32 v29, v39
	ds_read_b32 v31, v34
	;; [unrolled: 1-line block ×5, first 2 shown]
	ds_read2_b32 v[74:75], v40 offset0:35 offset1:170
	ds_read2_b32 v[76:77], v41 offset0:63 offset1:198
	;; [unrolled: 1-line block ×5, first 2 shown]
	s_waitcnt lgkmcnt(0)
	s_barrier
	ds_write2_b32 v25, v20, v23 offset1:1
	v_mul_f32_e32 v21, 0.5, v57
	v_mov_b32_e32 v20, v13
	v_mov_b32_e32 v0, v13
	v_pk_add_f32 v[12:13], v[32:33], v[0:1] op_sel_hi:[0,1]
	v_pk_add_f32 v[20:21], v[32:33], v[20:21] op_sel_hi:[0,1] neg_lo:[0,1] neg_hi:[0,1]
	v_mov_b32_e32 v0, v9
	v_mov_b32_e32 v8, v9
	v_mul_f32_e32 v9, 0x3f5db3d7, v58
	v_fmac_f32_e32 v71, 0x3f5db3d7, v54
	v_pk_add_f32 v[12:13], v[12:13], v[0:1] op_sel_hi:[1,0]
	v_pk_add_f32 v[8:9], v[20:21], v[8:9] neg_lo:[0,1] neg_hi:[0,1]
	ds_write_b32 v25, v71 offset:8
	ds_write2_b32 v36, v12, v9 offset1:1
	v_mul_f32_e32 v9, 0.5, v61
	v_mov_b32_e32 v8, v1
	v_mov_b32_e32 v0, v1
	v_pk_add_f32 v[0:1], v[28:29], v[0:1] op_sel_hi:[0,1]
	v_pk_add_f32 v[8:9], v[28:29], v[8:9] op_sel_hi:[0,1] neg_lo:[0,1] neg_hi:[0,1]
	v_mov_b32_e32 v2, v15
	v_mov_b32_e32 v12, v15
	v_mul_f32_e32 v13, 0x3f5db3d7, v30
	v_fmac_f32_e32 v21, 0x3f5db3d7, v58
	v_pk_add_f32 v[0:1], v[0:1], v[2:3] op_sel_hi:[1,0]
	v_pk_add_f32 v[12:13], v[8:9], v[12:13] neg_lo:[0,1] neg_hi:[0,1]
	ds_write_b32 v36, v21 offset:8
	ds_write2_b32 v35, v0, v13 offset1:1
	v_fmac_f32_e32 v9, 0x3f5db3d7, v30
	v_mul_f32_e32 v1, 0.5, v63
	v_mov_b32_e32 v0, v5
	v_mov_b32_e32 v2, v5
	ds_write_b32 v35, v9 offset:8
	v_mul_f32_e32 v9, 0x3f5db3d7, v64
	v_pk_add_f32 v[4:5], v[26:27], v[2:3] op_sel_hi:[0,1]
	v_pk_add_f32 v[0:1], v[26:27], v[0:1] op_sel_hi:[0,1] neg_lo:[0,1] neg_hi:[0,1]
	v_mov_b32_e32 v8, v3
	v_mov_b32_e32 v2, v3
	v_mul_f32_e32 v13, 0.5, v67
	v_pk_add_f32 v[2:3], v[4:5], v[2:3] op_sel_hi:[1,0]
	v_pk_add_f32 v[4:5], v[0:1], v[8:9] neg_lo:[0,1] neg_hi:[0,1]
	v_fmac_f32_e32 v1, 0x3f5db3d7, v64
	v_mov_b32_e32 v0, v11
	v_mov_b32_e32 v12, v11
	v_mul_f32_e32 v15, 0x3f5db3d7, v68
	ds_write2_b32 v37, v2, v5 offset1:1
	ds_write_b32 v37, v1 offset:8
	v_pk_add_f32 v[0:1], v[24:25], v[0:1] op_sel_hi:[0,1]
	v_pk_add_f32 v[2:3], v[24:25], v[12:13] op_sel_hi:[0,1] neg_lo:[0,1] neg_hi:[0,1]
	v_mov_b32_e32 v4, v7
	v_mov_b32_e32 v14, v7
	v_pk_add_f32 v[0:1], v[0:1], v[4:5] op_sel_hi:[1,0]
	v_pk_add_f32 v[4:5], v[2:3], v[14:15] neg_lo:[0,1] neg_hi:[0,1]
	s_movk_i32 s0, 0xab
	v_fmac_f32_e32 v3, 0x3f5db3d7, v68
	ds_write2_b32 v38, v0, v5 offset1:1
	ds_write_b32 v38, v3 offset:8
	v_mul_lo_u16_sdwa v0, v43, s0 dst_sel:DWORD dst_unused:UNUSED_PAD src0_sel:BYTE_0 src1_sel:DWORD
	v_lshrrev_b16_e32 v28, 9, v0
	v_mul_lo_u16_e32 v0, 3, v28
	v_sub_u16_e32 v30, v43, v0
	v_mov_b32_e32 v0, 4
	v_lshlrev_b32_sdwa v0, v0, v30 dst_sel:DWORD dst_unused:UNUSED_PAD src0_sel:DWORD src1_sel:BYTE_0
	s_waitcnt lgkmcnt(0)
	s_barrier
	global_load_dwordx4 v[0:3], v0, s[4:5]
	s_mov_b32 s0, 0xaaab
	v_mul_u32_u24_sdwa v4, v44, s0 dst_sel:DWORD dst_unused:UNUSED_PAD src0_sel:WORD_0 src1_sel:DWORD
	v_lshrrev_b32_e32 v54, 17, v4
	v_mul_lo_u16_e32 v4, 3, v54
	v_sub_u16_e32 v57, v44, v4
	v_lshlrev_b32_e32 v4, 4, v57
	global_load_dwordx4 v[4:7], v4, s[4:5]
	v_mul_u32_u24_sdwa v8, v18, s0 dst_sel:DWORD dst_unused:UNUSED_PAD src0_sel:WORD_0 src1_sel:DWORD
	v_lshrrev_b32_e32 v58, 17, v8
	v_mul_lo_u16_e32 v8, 3, v58
	v_sub_u16_e32 v60, v18, v8
	v_lshlrev_b32_e32 v8, 4, v60
	global_load_dwordx4 v[8:11], v8, s[4:5]
	v_mul_u32_u24_sdwa v12, v19, s0 dst_sel:DWORD dst_unused:UNUSED_PAD src0_sel:WORD_0 src1_sel:DWORD
	v_lshrrev_b32_e32 v61, 17, v12
	v_mul_lo_u16_e32 v12, 3, v61
	v_mul_u32_u24_sdwa v20, v33, s0 dst_sel:DWORD dst_unused:UNUSED_PAD src0_sel:WORD_0 src1_sel:DWORD
	v_sub_u16_e32 v62, v19, v12
	v_lshrrev_b32_e32 v63, 17, v20
	v_lshlrev_b32_e32 v12, 4, v62
	global_load_dwordx4 v[12:15], v12, s[4:5]
	v_mul_lo_u16_e32 v20, 3, v63
	v_sub_u16_e32 v64, v33, v20
	v_lshlrev_b32_e32 v20, 4, v64
	global_load_dwordx4 v[20:23], v20, s[4:5]
	ds_read2_b32 v[24:25], v40 offset0:35 offset1:170
	ds_read2_b32 v[26:27], v41 offset0:63 offset1:198
	s_mov_b32 s0, 0x5040100
	s_mov_b32 s1, 0xe38f
	s_waitcnt vmcnt(4) lgkmcnt(1)
	v_mul_f32_e32 v32, v24, v1
	v_mul_f32_e32 v66, v74, v1
	v_fma_f32 v65, v74, v0, -v32
	v_fmac_f32_e32 v66, v24, v0
	s_waitcnt lgkmcnt(0)
	v_mul_f32_e32 v0, v27, v3
	v_fma_f32 v24, v77, v2, -v0
	ds_read2_b32 v[0:1], v42 offset0:77 offset1:212
	v_mul_f32_e32 v67, v77, v3
	v_fmac_f32_e32 v67, v27, v2
	s_waitcnt vmcnt(3)
	v_mul_f32_e32 v2, v25, v5
	v_fma_f32 v68, v75, v4, -v2
	v_mul_f32_e32 v5, v75, v5
	s_waitcnt lgkmcnt(0)
	v_mul_f32_e32 v2, v0, v7
	v_fmac_f32_e32 v5, v25, v4
	v_fma_f32 v4, v78, v6, -v2
	ds_read2_b32 v[2:3], v45 offset0:49 offset1:184
	v_mul_f32_e32 v7, v78, v7
	v_fmac_f32_e32 v7, v0, v6
	s_waitcnt vmcnt(2)
	v_mul_f32_e32 v0, v1, v11
	v_fma_f32 v6, v79, v10, -v0
	v_mul_f32_e32 v11, v79, v11
	s_waitcnt lgkmcnt(0)
	v_mul_f32_e32 v0, v2, v9
	v_fmac_f32_e32 v11, v1, v10
	v_fma_f32 v10, v80, v8, -v0
	ds_read2_b32 v[0:1], v48 offset0:91 offset1:226
	v_mul_f32_e32 v9, v80, v9
	v_fmac_f32_e32 v9, v2, v8
	s_waitcnt vmcnt(1)
	v_mul_f32_e32 v2, v3, v13
	v_mul_f32_e32 v8, v81, v13
	v_fma_f32 v2, v81, v12, -v2
	v_fmac_f32_e32 v8, v3, v12
	v_mul_f32_e32 v12, v82, v15
	s_waitcnt lgkmcnt(0)
	v_mul_f32_e32 v3, v0, v15
	v_fmac_f32_e32 v12, v0, v14
	s_waitcnt vmcnt(0)
	v_mul_f32_e32 v0, v26, v21
	v_mul_f32_e32 v13, v76, v21
	v_fma_f32 v0, v76, v20, -v0
	v_fmac_f32_e32 v13, v26, v20
	v_mul_f32_e32 v15, v83, v23
	v_add_f32_e32 v20, v65, v24
	v_mov_b32_e32 v32, 2
	v_fma_f32 v3, v82, v14, -v3
	v_mul_f32_e32 v14, v1, v23
	v_fmac_f32_e32 v15, v1, v22
	v_add_f32_e32 v1, v29, v65
	v_fmac_f32_e32 v29, -0.5, v20
	v_mul_u32_u24_e32 v20, 36, v28
	v_lshlrev_b32_sdwa v21, v32, v30 dst_sel:DWORD dst_unused:UNUSED_PAD src0_sel:DWORD src1_sel:BYTE_0
	v_add3_u32 v30, 0, v20, v21
	v_sub_f32_e32 v20, v66, v67
	v_add_f32_e32 v1, v1, v24
	v_fmamk_f32 v21, v20, 0x3f5db3d7, v29
	v_fmac_f32_e32 v29, 0xbf5db3d7, v20
	v_add_f32_e32 v20, v68, v4
	ds_read_b32 v69, v39
	ds_read_b32 v70, v34
	;; [unrolled: 1-line block ×5, first 2 shown]
	s_waitcnt lgkmcnt(0)
	s_barrier
	ds_write2_b32 v30, v1, v21 offset1:3
	v_add_f32_e32 v1, v31, v68
	v_fmac_f32_e32 v31, -0.5, v20
	v_mul_u32_u24_e32 v20, 36, v54
	v_lshlrev_b32_e32 v21, 2, v57
	v_add3_u32 v74, 0, v20, v21
	v_sub_f32_e32 v20, v5, v7
	v_add_f32_e32 v1, v1, v4
	v_fmamk_f32 v21, v20, 0x3f5db3d7, v31
	ds_write_b32 v30, v29 offset:24
	ds_write2_b32 v74, v1, v21 offset1:3
	v_add_f32_e32 v21, v66, v67
	v_add_f32_e32 v1, v69, v66
	v_fmac_f32_e32 v69, -0.5, v21
	v_add_f32_e32 v21, v10, v6
	v_fmac_f32_e32 v31, 0xbf5db3d7, v20
	v_add_f32_e32 v20, v55, v10
	v_fmac_f32_e32 v55, -0.5, v21
	v_sub_f32_e32 v21, v9, v11
	v_add_f32_e32 v23, v2, v3
	v_fma_f32 v14, v83, v22, -v14
	v_fmamk_f32 v22, v21, 0x3f5db3d7, v55
	v_fmac_f32_e32 v55, 0xbf5db3d7, v21
	v_add_f32_e32 v21, v56, v2
	v_fmac_f32_e32 v56, -0.5, v23
	v_perm_b32 v23, v61, v58, s0
	v_pk_mul_lo_u16 v23, v23, 36 op_sel_hi:[1,0]
	v_sub_f32_e32 v65, v65, v24
	v_lshlrev_b32_e32 v24, 2, v60
	v_and_b32_e32 v25, 0xfffc, v23
	ds_write_b32 v74, v31 offset:24
	v_add3_u32 v31, 0, v25, v24
	v_add_f32_e32 v20, v20, v6
	ds_write2_b32 v31, v20, v22 offset1:3
	v_sub_f32_e32 v20, v8, v12
	v_add_f32_e32 v24, v0, v14
	v_fmamk_f32 v22, v20, 0x3f5db3d7, v56
	v_fmac_f32_e32 v56, 0xbf5db3d7, v20
	v_add_f32_e32 v20, v59, v0
	v_fmac_f32_e32 v59, -0.5, v24
	v_sub_f32_e32 v24, v13, v15
	v_fmamk_f32 v25, v24, 0x3f5db3d7, v59
	v_fmac_f32_e32 v59, 0xbf5db3d7, v24
	v_lshrrev_b32_e32 v23, 16, v23
	v_lshlrev_b32_e32 v24, 2, v62
	v_add_f32_e32 v21, v21, v3
	v_add3_u32 v62, 0, v23, v24
	ds_write_b32 v31, v55 offset:24
	ds_write2_b32 v62, v21, v22 offset1:3
	ds_write_b32 v62, v56 offset:24
	v_mul_u32_u24_e32 v21, 36, v63
	v_lshlrev_b32_e32 v22, 2, v64
	v_add_f32_e32 v1, v1, v67
	v_add_f32_e32 v20, v20, v14
	v_add3_u32 v63, 0, v21, v22
	v_fmamk_f32 v67, v65, 0xbf5db3d7, v69
	ds_write2_b32 v63, v20, v25 offset1:3
	ds_write_b32 v63, v59 offset:24
	s_waitcnt lgkmcnt(0)
	s_barrier
	ds_read_b32 v61, v39
	v_add_u32_e32 v58, 0xc00, v39
	v_add_u32_e32 v56, 0x1000, v39
	;; [unrolled: 1-line block ×5, first 2 shown]
	ds_read_b32 v64, v52
	ds_read_b32 v59, v53
	;; [unrolled: 1-line block ×3, first 2 shown]
	ds_read_b32 v66, v39 offset:7560
	ds_read2_b32 v[28:29], v58 offset0:42 offset1:177
	ds_read2_b32 v[24:25], v56 offset0:56 offset1:191
	ds_read2_b32 v[22:23], v55 offset0:84 offset1:219
	ds_read2_b32 v[26:27], v57 offset0:28 offset1:163
	ds_read2_b32 v[20:21], v54 offset0:70 offset1:205
	s_waitcnt lgkmcnt(0)
	s_barrier
	ds_write2_b32 v30, v1, v67 offset1:3
	v_add_f32_e32 v1, v70, v5
	v_add_f32_e32 v5, v5, v7
	;; [unrolled: 1-line block ×3, first 2 shown]
	v_fmac_f32_e32 v70, -0.5, v5
	v_sub_f32_e32 v4, v68, v4
	v_add_f32_e32 v7, v9, v11
	v_fmamk_f32 v5, v4, 0xbf5db3d7, v70
	v_fmac_f32_e32 v70, 0x3f5db3d7, v4
	v_add_f32_e32 v4, v71, v9
	v_fmac_f32_e32 v71, -0.5, v7
	v_sub_f32_e32 v6, v10, v6
	v_fmamk_f32 v7, v6, 0xbf5db3d7, v71
	v_fmac_f32_e32 v71, 0x3f5db3d7, v6
	v_add_f32_e32 v6, v72, v8
	v_add_f32_e32 v8, v8, v12
	v_fmac_f32_e32 v72, -0.5, v8
	v_sub_f32_e32 v2, v2, v3
	v_add_f32_e32 v8, v13, v15
	v_fmamk_f32 v3, v2, 0xbf5db3d7, v72
	v_fmac_f32_e32 v72, 0x3f5db3d7, v2
	v_add_f32_e32 v2, v73, v13
	v_fmac_f32_e32 v73, -0.5, v8
	v_sub_f32_e32 v0, v0, v14
	v_fmamk_f32 v8, v0, 0xbf5db3d7, v73
	v_fmac_f32_e32 v73, 0x3f5db3d7, v0
	v_mov_b32_e32 v0, 57
	v_fmac_f32_e32 v69, 0x3f5db3d7, v65
	v_mul_lo_u16_sdwa v0, v43, v0 dst_sel:DWORD dst_unused:UNUSED_PAD src0_sel:BYTE_0 src1_sel:DWORD
	ds_write_b32 v30, v69 offset:24
	v_add_f32_e32 v4, v4, v11
	v_add_f32_e32 v6, v6, v12
	;; [unrolled: 1-line block ×3, first 2 shown]
	ds_write2_b32 v74, v1, v5 offset1:3
	ds_write_b32 v74, v70 offset:24
	ds_write2_b32 v31, v4, v7 offset1:3
	ds_write_b32 v31, v71 offset:24
	;; [unrolled: 2-line block ×4, first 2 shown]
	v_lshrrev_b16_e32 v63, 9, v0
	v_mul_lo_u16_e32 v0, 9, v63
	v_sub_u16_e32 v65, v43, v0
	v_mov_b32_e32 v62, 5
	v_mul_u32_u24_sdwa v4, v44, s1 dst_sel:DWORD dst_unused:UNUSED_PAD src0_sel:WORD_0 src1_sel:DWORD
	v_lshlrev_b32_sdwa v12, v62, v65 dst_sel:DWORD dst_unused:UNUSED_PAD src0_sel:DWORD src1_sel:BYTE_0
	v_lshrrev_b32_e32 v67, 19, v4
	s_waitcnt lgkmcnt(0)
	s_barrier
	global_load_dwordx4 v[0:3], v12, s[4:5] offset:48
	v_mul_lo_u16_e32 v4, 9, v67
	v_sub_u16_e32 v68, v44, v4
	v_lshlrev_b32_e32 v69, 5, v68
	global_load_dwordx4 v[4:7], v69, s[4:5] offset:48
	v_mul_u32_u24_sdwa v8, v18, s1 dst_sel:DWORD dst_unused:UNUSED_PAD src0_sel:WORD_0 src1_sel:DWORD
	v_lshrrev_b32_e32 v70, 19, v8
	v_mul_lo_u16_e32 v8, 9, v70
	v_sub_u16_e32 v71, v18, v8
	v_lshlrev_b32_e32 v72, 5, v71
	global_load_dwordx4 v[8:11], v72, s[4:5] offset:48
	ds_read_b32 v73, v52
	ds_read2_b32 v[30:31], v58 offset0:42 offset1:177
	global_load_dwordx4 v[12:15], v12, s[4:5] offset:64
	ds_read_b32 v74, v53
	s_waitcnt vmcnt(3) lgkmcnt(2)
	v_mul_f32_e32 v75, v73, v1
	v_fma_f32 v75, v64, v0, -v75
	v_mul_f32_e32 v64, v64, v1
	v_fmac_f32_e32 v64, v73, v0
	s_waitcnt lgkmcnt(1)
	v_mul_f32_e32 v0, v30, v3
	v_mul_f32_e32 v76, v28, v3
	v_fma_f32 v73, v28, v2, -v0
	v_fmac_f32_e32 v76, v30, v2
	global_load_dwordx4 v[0:3], v69, s[4:5] offset:64
	s_waitcnt vmcnt(3)
	v_mul_f32_e32 v28, v31, v7
	v_fma_f32 v30, v29, v6, -v28
	v_mul_f32_e32 v69, v29, v7
	ds_read2_b32 v[28:29], v57 offset0:28 offset1:163
	v_fmac_f32_e32 v69, v31, v6
	v_mul_f32_e32 v77, v26, v5
	s_waitcnt vmcnt(2)
	v_mul_f32_e32 v78, v27, v9
	v_mul_f32_e32 v80, v24, v11
	s_waitcnt lgkmcnt(0)
	v_mul_f32_e32 v6, v28, v5
	v_fma_f32 v31, v26, v4, -v6
	v_fmac_f32_e32 v77, v28, v4
	global_load_dwordx4 v[4:7], v72, s[4:5] offset:64
	v_mul_f32_e32 v26, v29, v9
	v_fma_f32 v72, v27, v8, -v26
	v_fmac_f32_e32 v78, v29, v8
	ds_read2_b32 v[8:9], v56 offset0:56 offset1:191
	s_waitcnt lgkmcnt(0)
	v_mul_f32_e32 v26, v8, v11
	v_fma_f32 v79, v24, v10, -v26
	v_fmac_f32_e32 v80, v8, v10
	ds_read2_b32 v[10:11], v55 offset0:84 offset1:219
	s_waitcnt vmcnt(2)
	v_mul_f32_e32 v8, v9, v13
	v_fma_f32 v24, v25, v12, -v8
	v_mul_f32_e32 v13, v25, v13
	v_fmac_f32_e32 v13, v9, v12
	s_waitcnt lgkmcnt(0)
	v_mul_f32_e32 v8, v10, v15
	v_fma_f32 v12, v22, v14, -v8
	ds_read2_b32 v[8:9], v54 offset0:70 offset1:205
	v_mul_f32_e32 v15, v22, v15
	v_fmac_f32_e32 v15, v10, v14
	v_mul_u32_u24_e32 v14, 0xb4, v63
	s_waitcnt vmcnt(1)
	v_mul_f32_e32 v10, v11, v3
	v_mul_f32_e32 v3, v23, v3
	v_fma_f32 v10, v23, v2, -v10
	v_fmac_f32_e32 v3, v11, v2
	s_waitcnt lgkmcnt(0)
	v_mul_f32_e32 v2, v8, v1
	v_mul_f32_e32 v1, v20, v1
	v_fmac_f32_e32 v1, v8, v0
	ds_read_b32 v8, v39 offset:7560
	v_fma_f32 v2, v20, v0, -v2
	v_add_f32_e32 v20, v73, v24
	v_fma_f32 v20, -0.5, v20, v61
	v_sub_f32_e32 v23, v76, v13
	s_waitcnt vmcnt(0) lgkmcnt(0)
	v_mul_f32_e32 v11, v8, v7
	v_mul_f32_e32 v7, v66, v7
	v_fma_f32 v11, v66, v6, -v11
	v_fmac_f32_e32 v7, v8, v6
	v_sub_f32_e32 v6, v75, v73
	v_sub_f32_e32 v8, v12, v24
	v_mul_f32_e32 v0, v9, v5
	v_add_f32_e32 v6, v6, v8
	v_lshlrev_b32_sdwa v8, v32, v65 dst_sel:DWORD dst_unused:UNUSED_PAD src0_sel:DWORD src1_sel:BYTE_0
	v_fma_f32 v0, v21, v4, -v0
	v_mul_f32_e32 v5, v21, v5
	v_add3_u32 v8, 0, v14, v8
	v_add_f32_e32 v14, v61, v75
	v_sub_f32_e32 v21, v64, v15
	v_add_f32_e32 v14, v14, v73
	v_fmamk_f32 v22, v21, 0x3f737871, v20
	v_add_f32_e32 v14, v14, v24
	v_fmac_f32_e32 v22, 0x3f167918, v23
	v_add_f32_e32 v14, v14, v12
	v_fmac_f32_e32 v22, 0x3e9e377a, v6
	v_fmac_f32_e32 v5, v9, v4
	ds_read_b32 v4, v34
	ds_read_b32 v9, v39
	s_waitcnt lgkmcnt(0)
	s_barrier
	ds_write2_b32 v8, v14, v22 offset1:9
	v_add_f32_e32 v14, v75, v12
	v_fmac_f32_e32 v61, -0.5, v14
	v_sub_f32_e32 v14, v73, v75
	v_sub_f32_e32 v22, v24, v12
	v_add_f32_e32 v14, v14, v22
	v_fmamk_f32 v22, v23, 0xbf737871, v61
	v_fmac_f32_e32 v61, 0x3f737871, v23
	v_fmac_f32_e32 v20, 0xbf737871, v21
	;; [unrolled: 1-line block ×8, first 2 shown]
	v_sub_f32_e32 v6, v31, v30
	v_sub_f32_e32 v14, v10, v2
	v_add_f32_e32 v6, v6, v14
	v_perm_b32 v14, v70, v67, s0
	s_movk_i32 s0, 0xb4
	v_pk_mul_lo_u16 v14, v14, s0 op_sel_hi:[1,0]
	ds_write_b32 v8, v20 offset:144
	v_lshlrev_b32_e32 v20, 2, v68
	v_and_b32_e32 v21, 0xfffc, v14
	v_add3_u32 v63, 0, v21, v20
	v_add_f32_e32 v21, v30, v2
	ds_write2_b32 v8, v22, v61 offset0:18 offset1:27
	v_add_f32_e32 v20, v60, v31
	v_fma_f32 v21, -0.5, v21, v60
	v_sub_f32_e32 v22, v77, v3
	v_add_f32_e32 v20, v20, v30
	v_fmamk_f32 v23, v22, 0x3f737871, v21
	v_sub_f32_e32 v25, v69, v1
	v_add_f32_e32 v20, v20, v2
	v_fmac_f32_e32 v23, 0x3f167918, v25
	v_add_f32_e32 v20, v20, v10
	v_fmac_f32_e32 v23, 0x3e9e377a, v6
	ds_write2_b32 v63, v20, v23 offset1:9
	v_add_f32_e32 v20, v31, v10
	v_fmac_f32_e32 v60, -0.5, v20
	v_sub_f32_e32 v20, v30, v31
	v_sub_f32_e32 v23, v2, v10
	v_add_f32_e32 v20, v20, v23
	v_fmamk_f32 v23, v25, 0xbf737871, v60
	v_fmac_f32_e32 v60, 0x3f737871, v25
	v_fmac_f32_e32 v21, 0xbf737871, v22
	;; [unrolled: 1-line block ×8, first 2 shown]
	v_sub_f32_e32 v6, v72, v79
	v_sub_f32_e32 v20, v11, v0
	v_add_f32_e32 v6, v6, v20
	ds_write_b32 v63, v21 offset:144
	v_lshlrev_b32_e32 v20, 2, v71
	v_lshrrev_b32_e32 v14, 16, v14
	v_add_f32_e32 v21, v79, v0
	v_add3_u32 v14, 0, v14, v20
	v_add_f32_e32 v20, v59, v72
	v_fma_f32 v21, -0.5, v21, v59
	v_sub_f32_e32 v22, v78, v7
	ds_write2_b32 v63, v23, v60 offset0:18 offset1:27
	v_add_f32_e32 v20, v20, v79
	v_fmamk_f32 v23, v22, 0x3f737871, v21
	v_sub_f32_e32 v25, v80, v5
	v_add_f32_e32 v20, v20, v0
	v_fmac_f32_e32 v23, 0x3f167918, v25
	v_add_f32_e32 v20, v20, v11
	v_fmac_f32_e32 v23, 0x3e9e377a, v6
	ds_write2_b32 v14, v20, v23 offset1:9
	v_add_f32_e32 v20, v72, v11
	v_fmac_f32_e32 v59, -0.5, v20
	v_sub_f32_e32 v20, v79, v72
	v_sub_f32_e32 v23, v0, v11
	v_add_f32_e32 v20, v20, v23
	v_fmamk_f32 v23, v25, 0xbf737871, v59
	v_fmac_f32_e32 v59, 0x3f737871, v25
	v_fmac_f32_e32 v23, 0x3f167918, v22
	v_fmac_f32_e32 v59, 0xbf167918, v22
	v_fmac_f32_e32 v23, 0x3e9e377a, v20
	v_fmac_f32_e32 v59, 0x3e9e377a, v20
	ds_write2_b32 v14, v23, v59 offset0:18 offset1:27
	v_sub_f32_e32 v20, v64, v76
	v_sub_f32_e32 v23, v15, v13
	v_fmac_f32_e32 v21, 0xbf737871, v22
	v_add_f32_e32 v66, v20, v23
	v_fmac_f32_e32 v21, 0xbf167918, v25
	v_add_f32_e32 v20, v76, v13
	v_sub_f32_e32 v12, v75, v12
	v_fmac_f32_e32 v21, 0x3e9e377a, v6
	v_add_f32_e32 v6, v9, v64
	v_fma_f32 v70, -0.5, v20, v9
	v_sub_f32_e32 v65, v73, v24
	v_add_f32_e32 v6, v6, v76
	v_fmamk_f32 v71, v12, 0xbf737871, v70
	v_add_f32_e32 v6, v6, v13
	v_fmac_f32_e32 v71, 0xbf167918, v65
	v_add_f32_e32 v6, v6, v15
	v_fmac_f32_e32 v71, 0x3e9e377a, v66
	ds_write_b32 v14, v21 offset:144
	s_waitcnt lgkmcnt(0)
	s_barrier
	ds_read_b32 v60, v39
	ds_read_b32 v68, v52
	ds_read_b32 v59, v53
	ds_read_b32 v61, v34
	ds_read_b32 v67, v39 offset:7560
	ds_read2_b32 v[28:29], v58 offset0:42 offset1:177
	ds_read2_b32 v[24:25], v56 offset0:56 offset1:191
	;; [unrolled: 1-line block ×5, first 2 shown]
	s_waitcnt lgkmcnt(0)
	s_barrier
	ds_write2_b32 v8, v6, v71 offset1:9
	v_add_f32_e32 v6, v64, v15
	v_fmac_f32_e32 v9, -0.5, v6
	v_sub_f32_e32 v6, v76, v64
	v_sub_f32_e32 v13, v13, v15
	v_add_f32_e32 v6, v6, v13
	v_fmamk_f32 v13, v65, 0x3f737871, v9
	v_fmac_f32_e32 v9, 0xbf737871, v65
	v_fmac_f32_e32 v13, 0xbf167918, v12
	v_fmac_f32_e32 v9, 0x3f167918, v12
	v_fmac_f32_e32 v13, 0x3e9e377a, v6
	v_fmac_f32_e32 v9, 0x3e9e377a, v6
	ds_write2_b32 v8, v13, v9 offset0:18 offset1:27
	v_sub_f32_e32 v6, v31, v10
	v_sub_f32_e32 v9, v77, v69
	v_sub_f32_e32 v10, v3, v1
	v_add_f32_e32 v9, v9, v10
	v_add_f32_e32 v10, v69, v1
	v_fma_f32 v10, -0.5, v10, v4
	v_fmac_f32_e32 v70, 0x3f737871, v12
	v_sub_f32_e32 v2, v30, v2
	v_fmamk_f32 v12, v6, 0xbf737871, v10
	v_fmac_f32_e32 v10, 0x3f737871, v6
	v_fmac_f32_e32 v12, 0xbf167918, v2
	;; [unrolled: 1-line block ×5, first 2 shown]
	v_add_f32_e32 v9, v4, v77
	v_add_f32_e32 v13, v77, v3
	;; [unrolled: 1-line block ×3, first 2 shown]
	v_fmac_f32_e32 v4, -0.5, v13
	v_add_f32_e32 v9, v9, v1
	v_add_f32_e32 v9, v9, v3
	v_sub_f32_e32 v1, v1, v3
	v_fmamk_f32 v3, v2, 0x3f737871, v4
	v_fmac_f32_e32 v4, 0xbf737871, v2
	v_sub_f32_e32 v13, v69, v77
	v_fmac_f32_e32 v3, 0xbf167918, v6
	v_fmac_f32_e32 v4, 0x3f167918, v6
	v_sub_f32_e32 v2, v78, v80
	v_sub_f32_e32 v6, v7, v5
	v_add_f32_e32 v1, v13, v1
	v_add_f32_e32 v2, v2, v6
	;; [unrolled: 1-line block ×3, first 2 shown]
	v_fmac_f32_e32 v3, 0x3e9e377a, v1
	v_fmac_f32_e32 v4, 0x3e9e377a, v1
	v_sub_f32_e32 v1, v72, v11
	v_fma_f32 v6, -0.5, v6, v74
	v_sub_f32_e32 v0, v79, v0
	v_fmamk_f32 v11, v1, 0xbf737871, v6
	v_fmac_f32_e32 v6, 0x3f737871, v1
	v_fmac_f32_e32 v11, 0xbf167918, v0
	;; [unrolled: 1-line block ×5, first 2 shown]
	v_add_f32_e32 v2, v74, v78
	v_add_f32_e32 v13, v78, v7
	;; [unrolled: 1-line block ×3, first 2 shown]
	v_fmac_f32_e32 v74, -0.5, v13
	v_add_f32_e32 v2, v2, v5
	s_movk_i32 s0, 0x6d
	v_add_f32_e32 v2, v2, v7
	v_sub_f32_e32 v5, v5, v7
	v_fmamk_f32 v7, v0, 0x3f737871, v74
	v_fmac_f32_e32 v74, 0xbf737871, v0
	v_mul_lo_u16_sdwa v0, v43, s0 dst_sel:DWORD dst_unused:UNUSED_PAD src0_sel:BYTE_0 src1_sel:DWORD
	v_fmac_f32_e32 v7, 0xbf167918, v1
	v_fmac_f32_e32 v74, 0x3f167918, v1
	v_sub_u16_sdwa v1, v43, v0 dst_sel:DWORD dst_unused:UNUSED_PAD src0_sel:DWORD src1_sel:BYTE_1
	v_lshrrev_b16_e32 v1, 1, v1
	v_fmac_f32_e32 v70, 0x3f167918, v65
	v_sub_f32_e32 v13, v80, v78
	v_and_b32_e32 v1, 0x7f, v1
	v_fmac_f32_e32 v70, 0x3e9e377a, v66
	v_add_f32_e32 v5, v13, v5
	v_add_u16_sdwa v0, v1, v0 dst_sel:DWORD dst_unused:UNUSED_PAD src0_sel:DWORD src1_sel:BYTE_1
	v_fmac_f32_e32 v7, 0x3e9e377a, v5
	v_fmac_f32_e32 v74, 0x3e9e377a, v5
	ds_write_b32 v8, v70 offset:144
	ds_write2_b32 v63, v9, v12 offset1:9
	ds_write2_b32 v63, v3, v4 offset0:18 offset1:27
	ds_write_b32 v63, v10 offset:144
	ds_write2_b32 v14, v2, v11 offset1:9
	ds_write2_b32 v14, v7, v74 offset0:18 offset1:27
	ds_write_b32 v14, v6 offset:144
	v_lshrrev_b16_e32 v63, 5, v0
	v_mul_lo_u16_e32 v0, 45, v63
	v_sub_u16_e32 v69, v43, v0
	v_lshlrev_b32_sdwa v30, v62, v69 dst_sel:DWORD dst_unused:UNUSED_PAD src0_sel:DWORD src1_sel:BYTE_0
	s_waitcnt lgkmcnt(0)
	s_barrier
	global_load_dwordx4 v[0:3], v30, s[4:5] offset:336
	s_movk_i32 s0, 0x2d83
	v_mul_u32_u24_sdwa v4, v44, s0 dst_sel:DWORD dst_unused:UNUSED_PAD src0_sel:WORD_0 src1_sel:DWORD
	v_lshrrev_b32_e32 v62, 19, v4
	v_mul_lo_u16_e32 v4, 45, v62
	v_sub_u16_e32 v64, v44, v4
	v_lshlrev_b32_e32 v70, 5, v64
	global_load_dwordx4 v[4:7], v70, s[4:5] offset:336
	v_mul_u32_u24_sdwa v8, v18, s0 dst_sel:DWORD dst_unused:UNUSED_PAD src0_sel:WORD_0 src1_sel:DWORD
	v_lshrrev_b32_e32 v65, 19, v8
	v_mul_lo_u16_e32 v8, 45, v65
	v_sub_u16_e32 v66, v18, v8
	v_lshlrev_b32_e32 v74, 5, v66
	global_load_dwordx4 v[8:11], v74, s[4:5] offset:336
	global_load_dwordx4 v[12:15], v30, s[4:5] offset:352
	ds_read_b32 v75, v52
	ds_read2_b32 v[30:31], v58 offset0:42 offset1:177
	ds_read_b32 v76, v53
	global_load_dwordx4 v[70:73], v70, s[4:5] offset:352
	s_movk_i32 s0, 0x5a
	v_cmp_gt_u32_e64 s[0:1], s0, v43
	s_waitcnt vmcnt(4) lgkmcnt(2)
	v_mul_f32_e32 v58, v75, v1
	v_fma_f32 v58, v68, v0, -v58
	v_mul_f32_e32 v68, v68, v1
	v_fmac_f32_e32 v68, v75, v0
	s_waitcnt lgkmcnt(1)
	v_mul_f32_e32 v0, v30, v3
	v_mul_f32_e32 v77, v28, v3
	v_fma_f32 v75, v28, v2, -v0
	v_fmac_f32_e32 v77, v30, v2
	global_load_dwordx4 v[0:3], v74, s[4:5] offset:352
	s_waitcnt vmcnt(4)
	v_mul_f32_e32 v28, v31, v7
	v_fma_f32 v30, v29, v6, -v28
	v_mul_f32_e32 v74, v29, v7
	ds_read2_b32 v[28:29], v57 offset0:28 offset1:163
	v_fmac_f32_e32 v74, v31, v6
	s_waitcnt lgkmcnt(0)
	v_mul_f32_e32 v6, v28, v5
	v_fma_f32 v31, v26, v4, -v6
	v_mul_f32_e32 v26, v26, v5
	v_fmac_f32_e32 v26, v28, v4
	ds_read_b32 v28, v34
	ds_read2_b32 v[4:5], v56 offset0:56 offset1:191
	s_waitcnt vmcnt(3)
	v_mul_f32_e32 v6, v29, v9
	v_fma_f32 v56, v27, v8, -v6
	v_mul_f32_e32 v9, v27, v9
	v_fmac_f32_e32 v9, v29, v8
	s_waitcnt lgkmcnt(0)
	v_mul_f32_e32 v6, v4, v11
	v_fma_f32 v8, v24, v10, -v6
	ds_read2_b32 v[6:7], v55 offset0:84 offset1:219
	v_mul_f32_e32 v11, v24, v11
	v_fmac_f32_e32 v11, v4, v10
	s_waitcnt vmcnt(2)
	v_mul_f32_e32 v4, v5, v13
	v_fma_f32 v10, v25, v12, -v4
	v_mul_f32_e32 v13, v25, v13
	s_waitcnt lgkmcnt(0)
	v_mul_f32_e32 v4, v6, v15
	v_fmac_f32_e32 v13, v5, v12
	v_fma_f32 v12, v22, v14, -v4
	ds_read2_b32 v[4:5], v54 offset0:70 offset1:205
	v_mul_f32_e32 v15, v22, v15
	ds_read_b32 v22, v39 offset:7560
	v_fmac_f32_e32 v15, v6, v14
	s_waitcnt vmcnt(1)
	v_mul_f32_e32 v14, v23, v73
	v_mul_f32_e32 v6, v7, v73
	v_fmac_f32_e32 v14, v7, v72
	s_waitcnt lgkmcnt(1)
	v_mul_f32_e32 v7, v4, v71
	v_fma_f32 v7, v20, v70, -v7
	v_mul_f32_e32 v20, v20, v71
	v_fmac_f32_e32 v20, v4, v70
	v_fma_f32 v6, v23, v72, -v6
	v_sub_f32_e32 v23, v12, v10
	v_sub_f32_e32 v25, v77, v13
	v_add_f32_e32 v27, v58, v12
	v_sub_f32_e32 v29, v10, v12
	v_sub_f32_e32 v54, v74, v20
	v_add_f32_e32 v55, v31, v6
	v_sub_f32_e32 v57, v7, v6
	s_waitcnt vmcnt(0)
	v_mul_f32_e32 v4, v5, v1
	v_mul_f32_e32 v1, v21, v1
	v_fma_f32 v4, v21, v0, -v4
	v_fmac_f32_e32 v1, v5, v0
	ds_read_b32 v0, v39
	s_waitcnt lgkmcnt(1)
	v_mul_f32_e32 v5, v22, v3
	v_mul_f32_e32 v3, v67, v3
	v_fmac_f32_e32 v3, v22, v2
	v_add_f32_e32 v21, v75, v10
	v_sub_f32_e32 v22, v58, v75
	v_fma_f32 v21, -0.5, v21, v60
	v_add_f32_e32 v22, v22, v23
	v_sub_f32_e32 v23, v68, v15
	v_fmamk_f32 v24, v23, 0x3f737871, v21
	v_fmac_f32_e32 v21, 0xbf737871, v23
	v_fmac_f32_e32 v24, 0x3f167918, v25
	;; [unrolled: 1-line block ×5, first 2 shown]
	v_add_f32_e32 v22, v60, v58
	v_fmac_f32_e32 v60, -0.5, v27
	v_sub_f32_e32 v27, v75, v58
	v_add_f32_e32 v27, v27, v29
	v_fmamk_f32 v29, v25, 0xbf737871, v60
	v_fmac_f32_e32 v60, 0x3f737871, v25
	v_fmac_f32_e32 v29, 0x3f167918, v23
	;; [unrolled: 1-line block ×3, first 2 shown]
	v_add_f32_e32 v22, v22, v75
	v_sub_f32_e32 v23, v68, v77
	v_sub_f32_e32 v25, v15, v13
	v_add_f32_e32 v22, v22, v10
	v_add_f32_e32 v23, v23, v25
	;; [unrolled: 1-line block ×4, first 2 shown]
	v_sub_f32_e32 v12, v58, v12
	s_waitcnt lgkmcnt(0)
	v_fma_f32 v25, -0.5, v25, v0
	v_fmac_f32_e32 v29, 0x3e9e377a, v27
	v_fmac_f32_e32 v60, 0x3e9e377a, v27
	v_sub_f32_e32 v10, v75, v10
	v_fmamk_f32 v27, v12, 0xbf737871, v25
	v_fmac_f32_e32 v25, 0x3f737871, v12
	v_fmac_f32_e32 v27, 0xbf167918, v10
	;; [unrolled: 1-line block ×5, first 2 shown]
	v_add_f32_e32 v23, v0, v68
	v_fma_f32 v5, v67, v2, -v5
	v_lshlrev_b32_sdwa v2, v32, v69 dst_sel:DWORD dst_unused:UNUSED_PAD src0_sel:DWORD src1_sel:BYTE_0
	v_add_f32_e32 v32, v68, v15
	v_add_f32_e32 v23, v23, v77
	v_fmac_f32_e32 v0, -0.5, v32
	v_sub_f32_e32 v32, v77, v68
	v_add_f32_e32 v23, v23, v13
	v_sub_f32_e32 v13, v13, v15
	v_add_f32_e32 v13, v32, v13
	v_fmamk_f32 v32, v10, 0x3f737871, v0
	v_fmac_f32_e32 v0, 0xbf737871, v10
	v_fmac_f32_e32 v32, 0xbf167918, v12
	;; [unrolled: 1-line block ×3, first 2 shown]
	v_sub_f32_e32 v10, v31, v30
	v_sub_f32_e32 v12, v6, v7
	v_add_f32_e32 v10, v10, v12
	v_add_f32_e32 v12, v30, v7
	v_fmac_f32_e32 v32, 0x3e9e377a, v13
	v_fmac_f32_e32 v0, 0x3e9e377a, v13
	v_fma_f32 v12, -0.5, v12, v61
	v_sub_f32_e32 v13, v26, v14
	v_add_f32_e32 v23, v23, v15
	v_fmamk_f32 v15, v13, 0x3f737871, v12
	v_fmac_f32_e32 v12, 0xbf737871, v13
	v_fmac_f32_e32 v15, 0x3f167918, v54
	;; [unrolled: 1-line block ×5, first 2 shown]
	v_add_f32_e32 v10, v61, v31
	v_fmac_f32_e32 v61, -0.5, v55
	v_sub_f32_e32 v55, v30, v31
	v_add_f32_e32 v55, v55, v57
	v_fmamk_f32 v57, v54, 0xbf737871, v61
	v_fmac_f32_e32 v61, 0x3f737871, v54
	v_add_f32_e32 v10, v10, v30
	v_fmac_f32_e32 v57, 0x3f167918, v13
	v_fmac_f32_e32 v61, 0xbf167918, v13
	v_add_f32_e32 v10, v10, v7
	v_sub_f32_e32 v7, v30, v7
	v_sub_f32_e32 v13, v26, v74
	;; [unrolled: 1-line block ×3, first 2 shown]
	v_add_f32_e32 v13, v13, v30
	v_add_f32_e32 v30, v74, v20
	;; [unrolled: 1-line block ×3, first 2 shown]
	v_sub_f32_e32 v6, v31, v6
	v_fma_f32 v30, -0.5, v30, v28
	v_fmamk_f32 v31, v6, 0xbf737871, v30
	v_fmac_f32_e32 v30, 0x3f737871, v6
	v_fmac_f32_e32 v31, 0xbf167918, v7
	;; [unrolled: 1-line block ×5, first 2 shown]
	v_add_f32_e32 v13, v28, v26
	v_add_f32_e32 v54, v26, v14
	;; [unrolled: 1-line block ×3, first 2 shown]
	v_fmac_f32_e32 v28, -0.5, v54
	v_add_f32_e32 v13, v13, v20
	v_add_f32_e32 v13, v13, v14
	v_sub_f32_e32 v14, v20, v14
	v_fmamk_f32 v20, v7, 0x3f737871, v28
	v_fmac_f32_e32 v28, 0xbf737871, v7
	v_sub_f32_e32 v26, v74, v26
	v_fmac_f32_e32 v20, 0xbf167918, v6
	v_fmac_f32_e32 v28, 0x3f167918, v6
	v_sub_f32_e32 v6, v56, v8
	v_sub_f32_e32 v7, v5, v4
	v_add_f32_e32 v14, v26, v14
	v_add_f32_e32 v6, v6, v7
	;; [unrolled: 1-line block ×3, first 2 shown]
	v_fmac_f32_e32 v20, 0x3e9e377a, v14
	v_fmac_f32_e32 v28, 0x3e9e377a, v14
	v_fma_f32 v7, -0.5, v7, v59
	v_sub_f32_e32 v14, v9, v3
	v_fmamk_f32 v26, v14, 0x3f737871, v7
	v_sub_f32_e32 v54, v11, v1
	v_fmac_f32_e32 v7, 0xbf737871, v14
	v_fmac_f32_e32 v57, 0x3e9e377a, v55
	;; [unrolled: 1-line block ×5, first 2 shown]
	v_add_f32_e32 v55, v56, v5
	v_fmac_f32_e32 v26, 0x3e9e377a, v6
	v_fmac_f32_e32 v7, 0x3e9e377a, v6
	v_add_f32_e32 v6, v59, v56
	v_fmac_f32_e32 v59, -0.5, v55
	v_sub_f32_e32 v55, v8, v56
	v_sub_f32_e32 v58, v4, v5
	v_add_f32_e32 v55, v55, v58
	v_fmamk_f32 v58, v54, 0xbf737871, v59
	v_fmac_f32_e32 v59, 0x3f737871, v54
	v_add_f32_e32 v6, v6, v8
	v_fmac_f32_e32 v58, 0x3f167918, v14
	v_fmac_f32_e32 v59, 0xbf167918, v14
	v_add_f32_e32 v6, v6, v4
	v_sub_f32_e32 v4, v8, v4
	v_sub_f32_e32 v8, v9, v11
	;; [unrolled: 1-line block ×3, first 2 shown]
	v_add_f32_e32 v8, v8, v14
	v_add_f32_e32 v14, v11, v1
	;; [unrolled: 1-line block ×3, first 2 shown]
	v_sub_f32_e32 v5, v56, v5
	v_fma_f32 v67, -0.5, v14, v76
	v_fmamk_f32 v68, v5, 0xbf737871, v67
	v_fmac_f32_e32 v67, 0x3f737871, v5
	v_fmac_f32_e32 v68, 0xbf167918, v4
	v_fmac_f32_e32 v67, 0x3f167918, v4
	v_fmac_f32_e32 v68, 0x3e9e377a, v8
	v_fmac_f32_e32 v67, 0x3e9e377a, v8
	v_add_f32_e32 v8, v76, v9
	v_add_f32_e32 v14, v9, v3
	;; [unrolled: 1-line block ×3, first 2 shown]
	v_fmac_f32_e32 v76, -0.5, v14
	v_add_f32_e32 v8, v8, v1
	v_sub_f32_e32 v9, v11, v9
	v_add_f32_e32 v11, v8, v3
	v_sub_f32_e32 v1, v1, v3
	v_fmamk_f32 v3, v4, 0x3f737871, v76
	v_fmac_f32_e32 v76, 0xbf737871, v4
	v_add_f32_e32 v1, v9, v1
	v_fmac_f32_e32 v3, 0xbf167918, v5
	v_fmac_f32_e32 v76, 0x3f167918, v5
	;; [unrolled: 1-line block ×4, first 2 shown]
	v_mul_u32_u24_e32 v1, 0x384, v63
	v_lshlrev_b32_e32 v4, 2, v64
	v_add3_u32 v1, 0, v1, v2
	v_mul_u32_u24_e32 v2, 0x384, v62
	v_lshlrev_b32_e32 v5, 2, v66
	v_add3_u32 v2, 0, v2, v4
	v_mul_u32_u24_e32 v4, 0x384, v65
	v_fmac_f32_e32 v58, 0x3e9e377a, v55
	v_fmac_f32_e32 v59, 0x3e9e377a, v55
	v_add3_u32 v4, 0, v4, v5
	s_barrier
	ds_write2_b32 v1, v22, v24 offset1:45
	ds_write2_b32 v1, v29, v60 offset0:90 offset1:135
	ds_write_b32 v1, v21 offset:720
	ds_write2_b32 v2, v10, v15 offset1:45
	ds_write2_b32 v2, v57, v61 offset0:90 offset1:135
	ds_write_b32 v2, v12 offset:720
	;; [unrolled: 3-line block ×3, first 2 shown]
	s_waitcnt lgkmcnt(0)
	s_barrier
	ds_read2_b32 v[8:9], v40 offset0:35 offset1:170
	ds_read2_b32 v[14:15], v41 offset0:63 offset1:198
	;; [unrolled: 1-line block ×5, first 2 shown]
	ds_read_b32 v64, v39
	ds_read_b32 v65, v34
	;; [unrolled: 1-line block ×5, first 2 shown]
	s_waitcnt lgkmcnt(0)
	s_barrier
	ds_write2_b32 v1, v23, v27 offset1:45
	ds_write2_b32 v1, v32, v0 offset0:90 offset1:135
	ds_write_b32 v1, v25 offset:720
	ds_write2_b32 v2, v13, v31 offset1:45
	ds_write2_b32 v2, v20, v28 offset0:90 offset1:135
	ds_write_b32 v2, v30 offset:720
	;; [unrolled: 3-line block ×3, first 2 shown]
	v_lshlrev_b32_e32 v10, 1, v43
	v_mov_b32_e32 v11, 0
	v_lshl_add_u64 v[12:13], v[10:11], 3, s[4:5]
	s_waitcnt lgkmcnt(0)
	s_barrier
	global_load_dwordx4 v[0:3], v[12:13], off offset:1776
	v_add_u32_e32 v4, 0xffffffa6, v43
	v_cndmask_b32_e64 v32, v4, v44, s[0:1]
	v_lshlrev_b32_e32 v4, 1, v32
	v_mov_b32_e32 v5, v11
	v_lshl_add_u64 v[4:5], v[4:5], 3, s[4:5]
	global_load_dwordx4 v[4:7], v[4:5], off offset:1776
	v_add_u32_e32 v10, 0x5a, v10
	v_lshl_add_u64 v[20:21], v[10:11], 3, s[4:5]
	global_load_dwordx4 v[20:23], v[20:21], off offset:1776
	s_mov_b32 s0, 0x91a3
	v_mul_u32_u24_sdwa v10, v19, s0 dst_sel:DWORD dst_unused:UNUSED_PAD src0_sel:WORD_0 src1_sel:DWORD
	v_lshrrev_b32_e32 v10, 23, v10
	v_mul_lo_u16_e32 v24, 0xe1, v10
	v_mul_u32_u24_sdwa v28, v33, s0 dst_sel:DWORD dst_unused:UNUSED_PAD src0_sel:WORD_0 src1_sel:DWORD
	v_sub_u16_e32 v67, v19, v24
	v_lshrrev_b32_e32 v28, 23, v28
	v_lshlrev_b32_e32 v24, 4, v67
	v_mul_lo_u16_e32 v28, 0xe1, v28
	global_load_dwordx4 v[24:27], v24, s[4:5] offset:1776
	v_sub_u16_e32 v68, v33, v28
	v_lshlrev_b32_e32 v28, 4, v68
	global_load_dwordx4 v[28:31], v28, s[4:5] offset:1776
	ds_read2_b32 v[60:61], v40 offset0:35 offset1:170
	ds_read2_b32 v[62:63], v41 offset0:63 offset1:198
	s_movk_i32 s0, 0x59
	v_cmp_lt_u32_e64 s[0:1], s0, v43
	s_waitcnt vmcnt(4) lgkmcnt(1)
	v_mul_f32_e32 v71, v60, v1
	v_fma_f32 v71, v8, v0, -v71
	v_mul_f32_e32 v8, v8, v1
	v_fmac_f32_e32 v8, v60, v0
	s_waitcnt lgkmcnt(0)
	v_mul_f32_e32 v0, v63, v3
	v_fma_f32 v60, v15, v2, -v0
	ds_read2_b32 v[0:1], v42 offset0:77 offset1:212
	v_mul_f32_e32 v15, v15, v3
	v_fmac_f32_e32 v15, v63, v2
	s_waitcnt vmcnt(3)
	v_mul_f32_e32 v2, v61, v5
	v_fma_f32 v63, v9, v4, -v2
	v_mul_f32_e32 v72, v9, v5
	s_waitcnt lgkmcnt(0)
	v_mul_f32_e32 v2, v0, v7
	v_fmac_f32_e32 v72, v61, v4
	v_fma_f32 v61, v54, v6, -v2
	ds_read2_b32 v[2:3], v45 offset0:49 offset1:184
	v_mul_f32_e32 v7, v54, v7
	v_fmac_f32_e32 v7, v0, v6
	s_waitcnt vmcnt(2)
	v_mul_f32_e32 v0, v1, v23
	v_fma_f32 v54, v55, v22, -v0
	v_mul_f32_e32 v55, v55, v23
	s_waitcnt lgkmcnt(0)
	v_mul_f32_e32 v0, v2, v21
	v_fma_f32 v73, v56, v20, -v0
	v_fmac_f32_e32 v55, v1, v22
	ds_read2_b32 v[0:1], v48 offset0:91 offset1:226
	v_mul_f32_e32 v21, v56, v21
	v_fmac_f32_e32 v21, v2, v20
	s_waitcnt vmcnt(1)
	v_mul_f32_e32 v2, v3, v25
	v_fma_f32 v56, v57, v24, -v2
	s_waitcnt lgkmcnt(0)
	v_mul_f32_e32 v2, v0, v27
	v_mul_f32_e32 v27, v58, v27
	;; [unrolled: 1-line block ×3, first 2 shown]
	v_fmac_f32_e32 v27, v0, v26
	s_waitcnt vmcnt(0)
	v_mul_f32_e32 v0, v62, v29
	v_fmac_f32_e32 v25, v3, v24
	v_fma_f32 v24, v58, v26, -v2
	v_fma_f32 v57, v14, v28, -v0
	v_mul_f32_e32 v14, v14, v29
	v_mul_f32_e32 v0, v1, v31
	v_add_f32_e32 v2, v71, v60
	v_fmac_f32_e32 v14, v62, v28
	v_fma_f32 v28, v59, v30, -v0
	v_add_f32_e32 v0, v64, v71
	v_fmac_f32_e32 v64, -0.5, v2
	v_sub_f32_e32 v2, v8, v15
	v_mul_f32_e32 v29, v59, v31
	v_add_f32_e32 v0, v0, v60
	v_fmamk_f32 v3, v2, 0x3f5db3d7, v64
	v_fmac_f32_e32 v64, 0xbf5db3d7, v2
	v_add_f32_e32 v2, v63, v61
	v_fmac_f32_e32 v29, v1, v30
	ds_read_b32 v1, v39
	ds_read_b32 v58, v34
	ds_read_b32 v59, v53
	ds_read_b32 v62, v52
	ds_read_b32 v74, v51
	s_waitcnt lgkmcnt(0)
	s_barrier
	ds_write2_b32 v39, v0, v3 offset1:225
	v_add_f32_e32 v0, v65, v63
	v_fmac_f32_e32 v65, -0.5, v2
	v_mov_b32_e32 v2, 0xa8c
	v_cndmask_b32_e64 v2, 0, v2, s[0:1]
	v_lshlrev_b32_e32 v3, 2, v32
	v_add3_u32 v32, 0, v2, v3
	v_sub_f32_e32 v2, v72, v7
	v_add_f32_e32 v0, v0, v61
	v_fmamk_f32 v3, v2, 0x3f5db3d7, v65
	v_fmac_f32_e32 v65, 0xbf5db3d7, v2
	v_add_f32_e32 v2, v73, v54
	ds_write_b32 v39, v64 offset:1800
	ds_write2_b32 v32, v0, v3 offset1:225
	v_add_f32_e32 v0, v66, v73
	v_fmac_f32_e32 v66, -0.5, v2
	v_sub_f32_e32 v2, v21, v55
	v_lshl_add_u32 v64, v43, 2, 0
	ds_write_b32 v32, v65 offset:1800
	v_add_f32_e32 v0, v0, v54
	v_fmamk_f32 v3, v2, 0x3f5db3d7, v66
	v_add_u32_e32 v65, 0xb00, v64
	ds_write2_b32 v65, v0, v3 offset0:16 offset1:241
	v_add_f32_e32 v0, v1, v8
	v_add_f32_e32 v75, v0, v15
	;; [unrolled: 1-line block ×3, first 2 shown]
	v_fmac_f32_e32 v66, 0xbf5db3d7, v2
	v_add_f32_e32 v2, v56, v24
	v_fmac_f32_e32 v1, -0.5, v0
	v_add_f32_e32 v0, v69, v56
	v_fmac_f32_e32 v69, -0.5, v2
	v_sub_f32_e32 v2, v25, v27
	v_add_f32_e32 v4, v57, v28
	v_fmamk_f32 v3, v2, 0x3f5db3d7, v69
	v_fmac_f32_e32 v69, 0xbf5db3d7, v2
	v_add_f32_e32 v2, v70, v57
	v_fmac_f32_e32 v70, -0.5, v4
	v_mul_u32_u24_e32 v4, 0xa8c, v10
	v_lshlrev_b32_e32 v5, 2, v67
	v_add3_u32 v10, 0, v4, v5
	v_add_f32_e32 v0, v0, v24
	v_sub_f32_e32 v15, v71, v60
	ds_write_b32 v64, v66 offset:4680
	ds_write2_b32 v10, v0, v3 offset1:225
	v_sub_f32_e32 v0, v14, v29
	v_lshl_add_u32 v60, v68, 2, 0
	v_add_f32_e32 v2, v2, v28
	v_fmamk_f32 v3, v0, 0x3f5db3d7, v70
	v_add_u32_e32 v66, 0x1500, v60
	v_fmac_f32_e32 v70, 0xbf5db3d7, v0
	ds_write_b32 v10, v69 offset:1800
	ds_write2_b32 v66, v2, v3 offset0:6 offset1:231
	ds_write_b32 v60, v70 offset:7200
	s_waitcnt lgkmcnt(0)
	s_barrier
	ds_read_b32 v20, v53
	ds_read_b32 v6, v52
	;; [unrolled: 1-line block ×5, first 2 shown]
	ds_read2_b32 v[30:31], v40 offset0:35 offset1:170
	ds_read2_b32 v[4:5], v41 offset0:63 offset1:198
	;; [unrolled: 1-line block ×5, first 2 shown]
	v_fmamk_f32 v51, v15, 0xbf5db3d7, v1
	v_fmac_f32_e32 v1, 0x3f5db3d7, v15
	v_add_f32_e32 v15, v58, v72
	v_add_f32_e32 v15, v15, v7
	;; [unrolled: 1-line block ×3, first 2 shown]
	v_fmac_f32_e32 v58, -0.5, v7
	v_sub_f32_e32 v7, v63, v61
	s_waitcnt lgkmcnt(0)
	s_barrier
	ds_write_b32 v39, v1 offset:1800
	v_fmamk_f32 v1, v7, 0xbf5db3d7, v58
	v_fmac_f32_e32 v58, 0x3f5db3d7, v7
	v_add_f32_e32 v7, v21, v55
	ds_write2_b32 v39, v75, v51 offset1:225
	ds_write2_b32 v32, v15, v1 offset1:225
	v_add_f32_e32 v1, v59, v21
	v_fmac_f32_e32 v59, -0.5, v7
	v_sub_f32_e32 v7, v73, v54
	v_add_f32_e32 v21, v25, v27
	v_fmamk_f32 v15, v7, 0xbf5db3d7, v59
	v_fmac_f32_e32 v59, 0x3f5db3d7, v7
	v_add_f32_e32 v7, v62, v25
	v_fmac_f32_e32 v62, -0.5, v21
	v_sub_f32_e32 v21, v56, v24
	v_fmamk_f32 v24, v21, 0xbf5db3d7, v62
	v_fmac_f32_e32 v62, 0x3f5db3d7, v21
	v_add_f32_e32 v21, v74, v14
	v_add_f32_e32 v14, v14, v29
	v_fmac_f32_e32 v74, -0.5, v14
	s_mov_b32 s0, 0x3f5db3d7
	s_movk_i32 s1, 0x1000
	v_sub_f32_e32 v14, v57, v28
	v_add_f32_e32 v1, v1, v55
	v_add_f32_e32 v7, v7, v27
	;; [unrolled: 1-line block ×3, first 2 shown]
	v_fmamk_f32 v25, v14, 0xbf5db3d7, v74
	v_fmac_f32_e32 v74, 0x3f5db3d7, v14
	ds_write_b32 v32, v58 offset:1800
	ds_write2_b32 v65, v1, v15 offset0:16 offset1:241
	ds_write_b32 v64, v59 offset:4680
	ds_write2_b32 v10, v7, v24 offset1:225
	ds_write_b32 v10, v62 offset:1800
	ds_write2_b32 v66, v21, v25 offset0:6 offset1:231
	ds_write_b32 v60, v74 offset:7200
	s_waitcnt lgkmcnt(0)
	s_barrier
	s_and_saveexec_b64 s[2:3], vcc
	s_cbranch_execz .LBB0_15
; %bb.14:
	v_add_co_u32_e32 v12, vcc, s1, v12
	v_lshlrev_b32_e32 v10, 1, v33
	s_nop 0
	v_addc_co_u32_e32 v13, vcc, 0, v13, vcc
	global_load_dwordx4 v[52:55], v[12:13], off offset:1280
	v_lshl_add_u64 v[28:29], v[10:11], 3, s[4:5]
	v_lshlrev_b32_e32 v10, 1, v19
	v_lshl_add_u64 v[56:57], v[10:11], 3, s[4:5]
	v_lshlrev_b32_e32 v10, 1, v18
	;; [unrolled: 2-line block ×3, first 2 shown]
	v_lshl_add_u64 v[10:11], v[10:11], 3, s[4:5]
	v_add_co_u32_e32 v10, vcc, s1, v10
	v_sub_u32_e32 v1, 0, v46
	s_nop 0
	v_addc_co_u32_e32 v11, vcc, 0, v11, vcc
	v_sub_u32_e32 v7, 0, v47
	ds_read2_b32 v[14:15], v41 offset0:63 offset1:198
	ds_read2_b32 v[12:13], v48 offset0:91 offset1:226
	;; [unrolled: 1-line block ×5, first 2 shown]
	global_load_dwordx4 v[44:47], v[10:11], off offset:1280
	v_sub_u32_e32 v21, 0, v49
	v_sub_u32_e32 v27, 0, v50
	v_mad_u64_u32 v[48:49], s[2:3], s8, v43, 0
	v_add_u32_e32 v51, 0x2a3, v43
	v_add_u32_e32 v63, 0x546, v43
	;; [unrolled: 1-line block ×6, first 2 shown]
	v_mov_b32_e32 v10, v49
	v_mad_u64_u32 v[36:37], s[4:5], s8, v51, 0
	v_mad_u64_u32 v[58:59], s[4:5], s8, v63, 0
	ds_read_b32 v7, v11
	ds_read_b32 v21, v21
	;; [unrolled: 1-line block ×5, first 2 shown]
	v_mad_u64_u32 v[10:11], s[4:5], s9, v43, v[10:11]
	v_mov_b32_e32 v38, v37
	v_mov_b32_e32 v62, v59
	v_mov_b32_e32 v49, v10
	v_mad_u64_u32 v[10:11], s[4:5], s9, v51, v[38:39]
	v_mad_u64_u32 v[38:39], s[4:5], s9, v63, v[62:63]
	v_mov_b32_e32 v37, v10
	v_mov_b32_e32 v59, v38
	s_waitcnt lgkmcnt(9)
	v_mov_b32_e32 v38, v15
	v_mov_b32_e32 v42, v5
	;; [unrolled: 1-line block ×3, first 2 shown]
	v_lshl_add_u64 v[10:11], v[36:37], 3, v[16:17]
	v_lshl_add_u64 v[36:37], v[58:59], 3, v[16:17]
	;; [unrolled: 1-line block ×3, first 2 shown]
	v_add_u32_e32 v5, 0x87, v43
	v_mad_u64_u32 v[60:61], s[4:5], s8, v5, 0
	s_mov_b32 s3, 0xc22e4507
	s_movk_i32 s2, 0x546
	s_waitcnt vmcnt(1) lgkmcnt(5)
	v_pk_mul_f32 v[58:59], v[52:53], v[40:41] op_sel_hi:[1,0]
	v_pk_mul_f32 v[38:39], v[54:55], v[38:39] op_sel_hi:[1,0]
	v_pk_fma_f32 v[62:63], v[30:31], v[52:53], v[58:59] op_sel:[0,0,1] op_sel_hi:[1,1,0] neg_lo:[0,0,1] neg_hi:[0,0,1]
	v_pk_fma_f32 v[52:53], v[30:31], v[52:53], v[58:59] op_sel:[0,0,1] op_sel_hi:[0,1,0]
	v_pk_fma_f32 v[58:59], v[42:43], v[54:55], v[38:39] op_sel:[0,0,1] op_sel_hi:[1,1,0] neg_lo:[0,0,1] neg_hi:[0,0,1]
	v_pk_fma_f32 v[38:39], v[50:51], v[54:55], v[38:39] op_sel:[0,0,1] op_sel_hi:[0,1,0]
	v_mov_b32_e32 v63, v53
	v_mov_b32_e32 v59, v39
	v_pk_add_f32 v[38:39], v[62:63], v[58:59]
	v_pk_add_f32 v[50:51], v[62:63], v[58:59] neg_lo:[0,1] neg_hi:[0,1]
	s_waitcnt lgkmcnt(0)
	v_pk_add_f32 v[52:53], v[34:35], v[62:63]
	v_pk_fma_f32 v[34:35], v[38:39], 0.5, v[34:35] op_sel_hi:[1,0,1] neg_lo:[1,0,0] neg_hi:[1,0,0]
	v_pk_mul_f32 v[38:39], v[50:51], s[0:1] op_sel_hi:[1,0]
	v_pk_add_f32 v[50:51], v[52:53], v[58:59]
	v_pk_add_f32 v[52:53], v[34:35], v[38:39] op_sel:[0,1] op_sel_hi:[1,0] neg_lo:[0,1] neg_hi:[0,1]
	v_pk_add_f32 v[34:35], v[34:35], v[38:39] op_sel:[0,1] op_sel_hi:[1,0]
	v_mov_b32_e32 v39, v53
	v_mov_b32_e32 v38, v34
	global_store_dwordx2 v[48:49], v[50:51], off
	v_mov_b32_e32 v53, v35
	global_store_dwordx2 v[10:11], v[38:39], off
	global_store_dwordx2 v[36:37], v[52:53], off
	v_add_co_u32_e32 v10, vcc, s1, v18
	v_mov_b32_e32 v42, v31
	s_nop 0
	v_addc_co_u32_e32 v11, vcc, 0, v19, vcc
	global_load_dwordx4 v[34:37], v[10:11], off offset:1280
	v_mov_b32_e32 v10, v61
	v_mad_u64_u32 v[10:11], s[4:5], s9, v5, v[10:11]
	v_add_u32_e32 v5, 0x32a, v43
	v_mad_u64_u32 v[18:19], s[4:5], s8, v5, 0
	v_mov_b32_e32 v30, v19
	v_mad_u64_u32 v[38:39], s[4:5], s9, v5, v[30:31]
	v_add_u32_e32 v5, 0x5cd, v43
	v_mov_b32_e32 v19, v38
	v_mad_u64_u32 v[38:39], s[4:5], s8, v5, 0
	v_mov_b32_e32 v30, v39
	v_mad_u64_u32 v[48:49], s[4:5], s9, v5, v[30:31]
	v_mov_b32_e32 v30, v41
	s_waitcnt vmcnt(4)
	v_pk_mul_f32 v[40:41], v[44:45], v[30:31] op_sel_hi:[1,0]
	v_mov_b32_e32 v30, v31
	v_pk_fma_f32 v[30:31], v[30:31], v[44:45], v[40:41] op_sel:[0,0,1] op_sel_hi:[1,1,0] neg_lo:[0,0,1] neg_hi:[0,0,1]
	v_pk_fma_f32 v[40:41], v[42:43], v[44:45], v[40:41] op_sel:[0,0,1] op_sel_hi:[0,1,0]
	v_mov_b32_e32 v31, v41
	v_pk_mul_f32 v[40:41], v[46:47], v[32:33] op_sel_hi:[1,0]
	v_mov_b32_e32 v61, v10
	v_pk_fma_f32 v[44:45], v[22:23], v[46:47], v[40:41] op_sel:[0,0,1] op_sel_hi:[1,1,0] neg_lo:[0,0,1] neg_hi:[0,0,1]
	v_pk_fma_f32 v[40:41], v[22:23], v[46:47], v[40:41] op_sel:[0,0,1] op_sel_hi:[0,1,0]
	v_mov_b32_e32 v45, v41
	v_pk_add_f32 v[40:41], v[30:31], v[44:45]
	v_pk_add_f32 v[46:47], v[30:31], v[44:45] neg_lo:[0,1] neg_hi:[0,1]
	v_pk_fma_f32 v[40:41], v[40:41], 0.5, v[26:27] op_sel_hi:[1,0,1] neg_lo:[1,0,0] neg_hi:[1,0,0]
	v_pk_mul_f32 v[46:47], v[46:47], s[0:1] op_sel_hi:[1,0]
	v_pk_add_f32 v[26:27], v[26:27], v[30:31]
	v_lshl_add_u64 v[10:11], v[60:61], 3, v[16:17]
	v_mov_b32_e32 v39, v48
	v_pk_add_f32 v[48:49], v[40:41], v[46:47] op_sel:[0,1] op_sel_hi:[1,0] neg_lo:[0,1] neg_hi:[0,1]
	v_pk_add_f32 v[40:41], v[40:41], v[46:47] op_sel:[0,1] op_sel_hi:[1,0]
	v_pk_add_f32 v[26:27], v[26:27], v[44:45]
	v_lshl_add_u64 v[18:19], v[18:19], 3, v[16:17]
	global_store_dwordx2 v[10:11], v[26:27], off
	v_mov_b32_e32 v10, v40
	v_mov_b32_e32 v11, v49
	v_add_u32_e32 v5, 0x10e, v43
	global_store_dwordx2 v[18:19], v[10:11], off
	v_mul_hi_u32 v10, v5, s3
	v_lshrrev_b32_e32 v10, 9, v10
	v_mad_u32_u24 v5, v10, s2, v5
	v_add_co_u32_e32 v18, vcc, s1, v56
	v_lshl_add_u64 v[38:39], v[38:39], 3, v[16:17]
	v_mov_b32_e32 v49, v41
	v_mad_u64_u32 v[10:11], s[4:5], s8, v5, 0
	v_addc_co_u32_e32 v19, vcc, 0, v57, vcc
	global_store_dwordx2 v[38:39], v[48:49], off
	global_load_dwordx4 v[38:41], v[18:19], off offset:1280
	v_mov_b32_e32 v18, v11
	v_mad_u64_u32 v[18:19], s[4:5], s9, v5, v[18:19]
	v_add_u32_e32 v15, 0x2a3, v5
	v_mov_b32_e32 v11, v18
	v_mad_u64_u32 v[18:19], s[4:5], s8, v15, 0
	v_mov_b32_e32 v22, v19
	v_mad_u64_u32 v[26:27], s[4:5], s9, v15, v[22:23]
	v_add_u32_e32 v5, 0x546, v5
	v_mov_b32_e32 v19, v26
	v_mad_u64_u32 v[26:27], s[4:5], s8, v5, 0
	v_mov_b32_e32 v22, v27
	v_mad_u64_u32 v[30:31], s[4:5], s9, v5, v[22:23]
	v_mov_b32_e32 v27, v30
	v_mov_b32_e32 v22, v23
	v_lshl_add_u64 v[10:11], v[10:11], 3, v[16:17]
	v_lshl_add_u64 v[18:19], v[18:19], 3, v[16:17]
	v_add_u32_e32 v5, 0x195, v43
	v_lshl_add_u64 v[26:27], v[26:27], 3, v[16:17]
	s_waitcnt vmcnt(4)
	v_pk_mul_f32 v[30:31], v[34:35], v[24:25] op_sel_hi:[1,0]
	s_nop 0
	v_pk_fma_f32 v[44:45], v[8:9], v[34:35], v[30:31] op_sel:[0,0,1] op_sel_hi:[1,1,0] neg_lo:[0,0,1] neg_hi:[0,0,1]
	v_pk_fma_f32 v[30:31], v[8:9], v[34:35], v[30:31] op_sel:[0,0,1] op_sel_hi:[0,1,0]
	v_mov_b32_e32 v8, v33
	v_mov_b32_e32 v45, v31
	v_pk_mul_f32 v[30:31], v[36:37], v[8:9] op_sel_hi:[1,0]
	v_mov_b32_e32 v8, v23
	v_pk_fma_f32 v[32:33], v[8:9], v[36:37], v[30:31] op_sel:[0,0,1] op_sel_hi:[1,1,0] neg_lo:[0,0,1] neg_hi:[0,0,1]
	v_pk_fma_f32 v[22:23], v[22:23], v[36:37], v[30:31] op_sel:[0,0,1] op_sel_hi:[0,1,0]
	v_mov_b32_e32 v33, v23
	v_pk_add_f32 v[22:23], v[44:45], v[32:33]
	v_pk_add_f32 v[30:31], v[44:45], v[32:33] neg_lo:[0,1] neg_hi:[0,1]
	v_pk_fma_f32 v[22:23], v[22:23], 0.5, v[20:21] op_sel_hi:[1,0,1] neg_lo:[1,0,0] neg_hi:[1,0,0]
	v_pk_mul_f32 v[30:31], v[30:31], s[0:1] op_sel_hi:[1,0]
	v_pk_add_f32 v[20:21], v[20:21], v[44:45]
	v_pk_add_f32 v[34:35], v[22:23], v[30:31] op_sel:[0,1] op_sel_hi:[1,0] neg_lo:[0,1] neg_hi:[0,1]
	v_pk_add_f32 v[22:23], v[22:23], v[30:31] op_sel:[0,1] op_sel_hi:[1,0]
	v_pk_add_f32 v[20:21], v[20:21], v[32:33]
	global_store_dwordx2 v[10:11], v[20:21], off
	v_mov_b32_e32 v10, v22
	v_mov_b32_e32 v11, v35
	global_store_dwordx2 v[18:19], v[10:11], off
	v_add_co_u32_e32 v10, vcc, s1, v28
	v_mul_hi_u32 v8, v5, s3
	s_nop 0
	v_addc_co_u32_e32 v11, vcc, 0, v29, vcc
	global_load_dwordx4 v[18:21], v[10:11], off offset:1280
	v_lshrrev_b32_e32 v8, 9, v8
	v_mad_u32_u24 v5, v8, s2, v5
	v_mad_u64_u32 v[10:11], s[4:5], s8, v5, 0
	v_mov_b32_e32 v8, v11
	v_mov_b32_e32 v35, v23
	v_mad_u64_u32 v[22:23], s[4:5], s9, v5, v[8:9]
	v_add_u32_e32 v15, 0x2a3, v5
	v_mov_b32_e32 v11, v22
	v_mad_u64_u32 v[22:23], s[4:5], s8, v15, 0
	v_mov_b32_e32 v8, v23
	global_store_dwordx2 v[26:27], v[34:35], off
	v_mad_u64_u32 v[26:27], s[4:5], s9, v15, v[8:9]
	v_add_u32_e32 v5, 0x546, v5
	v_mov_b32_e32 v23, v26
	v_mad_u64_u32 v[26:27], s[4:5], s8, v5, 0
	v_mov_b32_e32 v8, v27
	v_mad_u64_u32 v[28:29], s[4:5], s9, v5, v[8:9]
	v_mov_b32_e32 v8, v25
	v_mov_b32_e32 v27, v28
	;; [unrolled: 1-line block ×3, first 2 shown]
	v_lshl_add_u64 v[10:11], v[10:11], 3, v[16:17]
	s_waitcnt vmcnt(4)
	v_pk_mul_f32 v[24:25], v[38:39], v[8:9] op_sel_hi:[1,0]
	v_mov_b32_e32 v8, v9
	v_pk_fma_f32 v[8:9], v[8:9], v[38:39], v[24:25] op_sel:[0,0,1] op_sel_hi:[1,1,0] neg_lo:[0,0,1] neg_hi:[0,0,1]
	v_pk_fma_f32 v[24:25], v[28:29], v[38:39], v[24:25] op_sel:[0,0,1] op_sel_hi:[0,1,0]
	v_mov_b32_e32 v9, v25
	v_pk_mul_f32 v[24:25], v[40:41], v[12:13] op_sel_hi:[1,0]
	v_lshl_add_u64 v[22:23], v[22:23], 3, v[16:17]
	v_pk_fma_f32 v[28:29], v[2:3], v[40:41], v[24:25] op_sel:[0,0,1] op_sel_hi:[1,1,0] neg_lo:[0,0,1] neg_hi:[0,0,1]
	v_pk_fma_f32 v[24:25], v[2:3], v[40:41], v[24:25] op_sel:[0,0,1] op_sel_hi:[0,1,0]
	v_mov_b32_e32 v29, v25
	v_pk_add_f32 v[24:25], v[8:9], v[28:29]
	v_pk_add_f32 v[30:31], v[8:9], v[28:29] neg_lo:[0,1] neg_hi:[0,1]
	v_add_u32_e32 v2, 0x21c, v43
	v_pk_fma_f32 v[24:25], v[24:25], 0.5, v[6:7] op_sel_hi:[1,0,1] neg_lo:[1,0,0] neg_hi:[1,0,0]
	v_pk_mul_f32 v[30:31], v[30:31], s[0:1] op_sel_hi:[1,0]
	v_pk_add_f32 v[6:7], v[6:7], v[8:9]
	v_mul_hi_u32 v5, v2, s3
	v_pk_add_f32 v[32:33], v[24:25], v[30:31] op_sel:[0,1] op_sel_hi:[1,0] neg_lo:[0,1] neg_hi:[0,1]
	v_pk_add_f32 v[24:25], v[24:25], v[30:31] op_sel:[0,1] op_sel_hi:[1,0]
	v_pk_add_f32 v[6:7], v[6:7], v[28:29]
	v_lshrrev_b32_e32 v5, 9, v5
	global_store_dwordx2 v[10:11], v[6:7], off
	v_mov_b32_e32 v6, v24
	v_mov_b32_e32 v7, v33
	v_mad_u32_u24 v5, v5, s2, v2
	global_store_dwordx2 v[22:23], v[6:7], off
	v_mad_u64_u32 v[6:7], s[2:3], s8, v5, 0
	v_mov_b32_e32 v2, v7
	v_mad_u64_u32 v[8:9], s[2:3], s9, v5, v[2:3]
	v_add_u32_e32 v10, 0x2a3, v5
	v_mov_b32_e32 v7, v8
	v_mad_u64_u32 v[8:9], s[2:3], s8, v10, 0
	v_mov_b32_e32 v2, v9
	v_mad_u64_u32 v[10:11], s[2:3], s9, v10, v[2:3]
	v_add_u32_e32 v5, 0x546, v5
	v_mov_b32_e32 v9, v10
	v_mad_u64_u32 v[10:11], s[2:3], s8, v5, 0
	v_mov_b32_e32 v2, v11
	v_mad_u64_u32 v[22:23], s[2:3], s9, v5, v[2:3]
	v_mov_b32_e32 v11, v22
	v_lshl_add_u64 v[26:27], v[26:27], 3, v[16:17]
	v_lshl_add_u64 v[6:7], v[6:7], 3, v[16:17]
	;; [unrolled: 1-line block ×4, first 2 shown]
	v_mov_b32_e32 v2, v13
	v_mov_b32_e32 v12, v3
	s_waitcnt vmcnt(3)
	v_pk_mul_f32 v[14:15], v[18:19], v[14:15] op_sel_hi:[1,0]
	v_mov_b32_e32 v33, v25
	v_pk_fma_f32 v[16:17], v[4:5], v[18:19], v[14:15] op_sel:[0,0,1] op_sel_hi:[1,1,0] neg_lo:[0,0,1] neg_hi:[0,0,1]
	v_pk_fma_f32 v[4:5], v[4:5], v[18:19], v[14:15] op_sel:[0,0,1] op_sel_hi:[0,1,0]
	v_mov_b32_e32 v17, v5
	v_pk_mul_f32 v[4:5], v[20:21], v[2:3] op_sel_hi:[1,0]
	v_mov_b32_e32 v2, v3
	v_pk_fma_f32 v[2:3], v[2:3], v[20:21], v[4:5] op_sel:[0,0,1] op_sel_hi:[1,1,0] neg_lo:[0,0,1] neg_hi:[0,0,1]
	v_pk_fma_f32 v[4:5], v[12:13], v[20:21], v[4:5] op_sel:[0,0,1] op_sel_hi:[0,1,0]
	v_mov_b32_e32 v3, v5
	v_pk_add_f32 v[4:5], v[16:17], v[2:3]
	v_pk_add_f32 v[12:13], v[16:17], v[2:3] neg_lo:[0,1] neg_hi:[0,1]
	v_pk_fma_f32 v[4:5], v[4:5], 0.5, v[0:1] op_sel_hi:[1,0,1] neg_lo:[1,0,0] neg_hi:[1,0,0]
	v_pk_mul_f32 v[12:13], v[12:13], s[0:1] op_sel_hi:[1,0]
	v_pk_add_f32 v[0:1], v[0:1], v[16:17]
	v_pk_add_f32 v[14:15], v[4:5], v[12:13] op_sel:[0,1] op_sel_hi:[1,0] neg_lo:[0,1] neg_hi:[0,1]
	v_pk_add_f32 v[4:5], v[4:5], v[12:13] op_sel:[0,1] op_sel_hi:[1,0]
	v_pk_add_f32 v[0:1], v[0:1], v[2:3]
	global_store_dwordx2 v[26:27], v[32:33], off
	global_store_dwordx2 v[6:7], v[0:1], off
	v_mov_b32_e32 v0, v4
	v_mov_b32_e32 v1, v15
	;; [unrolled: 1-line block ×3, first 2 shown]
	global_store_dwordx2 v[8:9], v[0:1], off
	global_store_dwordx2 v[10:11], v[14:15], off
.LBB0_15:
	s_endpgm
	.section	.rodata,"a",@progbits
	.p2align	6, 0x0
	.amdhsa_kernel fft_rtc_fwd_len2025_factors_3_3_5_5_3_3_wgs_135_tpt_135_halfLds_sp_ip_CI_sbrr_dirReg
		.amdhsa_group_segment_fixed_size 0
		.amdhsa_private_segment_fixed_size 0
		.amdhsa_kernarg_size 88
		.amdhsa_user_sgpr_count 2
		.amdhsa_user_sgpr_dispatch_ptr 0
		.amdhsa_user_sgpr_queue_ptr 0
		.amdhsa_user_sgpr_kernarg_segment_ptr 1
		.amdhsa_user_sgpr_dispatch_id 0
		.amdhsa_user_sgpr_kernarg_preload_length 0
		.amdhsa_user_sgpr_kernarg_preload_offset 0
		.amdhsa_user_sgpr_private_segment_size 0
		.amdhsa_uses_dynamic_stack 0
		.amdhsa_enable_private_segment 0
		.amdhsa_system_sgpr_workgroup_id_x 1
		.amdhsa_system_sgpr_workgroup_id_y 0
		.amdhsa_system_sgpr_workgroup_id_z 0
		.amdhsa_system_sgpr_workgroup_info 0
		.amdhsa_system_vgpr_workitem_id 0
		.amdhsa_next_free_vgpr 84
		.amdhsa_next_free_sgpr 24
		.amdhsa_accum_offset 84
		.amdhsa_reserve_vcc 1
		.amdhsa_float_round_mode_32 0
		.amdhsa_float_round_mode_16_64 0
		.amdhsa_float_denorm_mode_32 3
		.amdhsa_float_denorm_mode_16_64 3
		.amdhsa_dx10_clamp 1
		.amdhsa_ieee_mode 1
		.amdhsa_fp16_overflow 0
		.amdhsa_tg_split 0
		.amdhsa_exception_fp_ieee_invalid_op 0
		.amdhsa_exception_fp_denorm_src 0
		.amdhsa_exception_fp_ieee_div_zero 0
		.amdhsa_exception_fp_ieee_overflow 0
		.amdhsa_exception_fp_ieee_underflow 0
		.amdhsa_exception_fp_ieee_inexact 0
		.amdhsa_exception_int_div_zero 0
	.end_amdhsa_kernel
	.text
.Lfunc_end0:
	.size	fft_rtc_fwd_len2025_factors_3_3_5_5_3_3_wgs_135_tpt_135_halfLds_sp_ip_CI_sbrr_dirReg, .Lfunc_end0-fft_rtc_fwd_len2025_factors_3_3_5_5_3_3_wgs_135_tpt_135_halfLds_sp_ip_CI_sbrr_dirReg
                                        ; -- End function
	.section	.AMDGPU.csdata,"",@progbits
; Kernel info:
; codeLenInByte = 11076
; NumSgprs: 30
; NumVgprs: 84
; NumAgprs: 0
; TotalNumVgprs: 84
; ScratchSize: 0
; MemoryBound: 0
; FloatMode: 240
; IeeeMode: 1
; LDSByteSize: 0 bytes/workgroup (compile time only)
; SGPRBlocks: 3
; VGPRBlocks: 10
; NumSGPRsForWavesPerEU: 30
; NumVGPRsForWavesPerEU: 84
; AccumOffset: 84
; Occupancy: 5
; WaveLimiterHint : 1
; COMPUTE_PGM_RSRC2:SCRATCH_EN: 0
; COMPUTE_PGM_RSRC2:USER_SGPR: 2
; COMPUTE_PGM_RSRC2:TRAP_HANDLER: 0
; COMPUTE_PGM_RSRC2:TGID_X_EN: 1
; COMPUTE_PGM_RSRC2:TGID_Y_EN: 0
; COMPUTE_PGM_RSRC2:TGID_Z_EN: 0
; COMPUTE_PGM_RSRC2:TIDIG_COMP_CNT: 0
; COMPUTE_PGM_RSRC3_GFX90A:ACCUM_OFFSET: 20
; COMPUTE_PGM_RSRC3_GFX90A:TG_SPLIT: 0
	.text
	.p2alignl 6, 3212836864
	.fill 256, 4, 3212836864
	.type	__hip_cuid_52644451f5cbeb70,@object ; @__hip_cuid_52644451f5cbeb70
	.section	.bss,"aw",@nobits
	.globl	__hip_cuid_52644451f5cbeb70
__hip_cuid_52644451f5cbeb70:
	.byte	0                               ; 0x0
	.size	__hip_cuid_52644451f5cbeb70, 1

	.ident	"AMD clang version 19.0.0git (https://github.com/RadeonOpenCompute/llvm-project roc-6.4.0 25133 c7fe45cf4b819c5991fe208aaa96edf142730f1d)"
	.section	".note.GNU-stack","",@progbits
	.addrsig
	.addrsig_sym __hip_cuid_52644451f5cbeb70
	.amdgpu_metadata
---
amdhsa.kernels:
  - .agpr_count:     0
    .args:
      - .actual_access:  read_only
        .address_space:  global
        .offset:         0
        .size:           8
        .value_kind:     global_buffer
      - .offset:         8
        .size:           8
        .value_kind:     by_value
      - .actual_access:  read_only
        .address_space:  global
        .offset:         16
        .size:           8
        .value_kind:     global_buffer
      - .actual_access:  read_only
        .address_space:  global
        .offset:         24
        .size:           8
        .value_kind:     global_buffer
      - .offset:         32
        .size:           8
        .value_kind:     by_value
      - .actual_access:  read_only
        .address_space:  global
        .offset:         40
        .size:           8
        .value_kind:     global_buffer
      - .actual_access:  read_only
        .address_space:  global
        .offset:         48
        .size:           8
        .value_kind:     global_buffer
      - .offset:         56
        .size:           4
        .value_kind:     by_value
      - .actual_access:  read_only
        .address_space:  global
        .offset:         64
        .size:           8
        .value_kind:     global_buffer
      - .actual_access:  read_only
        .address_space:  global
        .offset:         72
        .size:           8
        .value_kind:     global_buffer
      - .address_space:  global
        .offset:         80
        .size:           8
        .value_kind:     global_buffer
    .group_segment_fixed_size: 0
    .kernarg_segment_align: 8
    .kernarg_segment_size: 88
    .language:       OpenCL C
    .language_version:
      - 2
      - 0
    .max_flat_workgroup_size: 135
    .name:           fft_rtc_fwd_len2025_factors_3_3_5_5_3_3_wgs_135_tpt_135_halfLds_sp_ip_CI_sbrr_dirReg
    .private_segment_fixed_size: 0
    .sgpr_count:     30
    .sgpr_spill_count: 0
    .symbol:         fft_rtc_fwd_len2025_factors_3_3_5_5_3_3_wgs_135_tpt_135_halfLds_sp_ip_CI_sbrr_dirReg.kd
    .uniform_work_group_size: 1
    .uses_dynamic_stack: false
    .vgpr_count:     84
    .vgpr_spill_count: 0
    .wavefront_size: 64
amdhsa.target:   amdgcn-amd-amdhsa--gfx950
amdhsa.version:
  - 1
  - 2
...

	.end_amdgpu_metadata
